;; amdgpu-corpus repo=ROCm/rocFFT kind=compiled arch=gfx1030 opt=O3
	.text
	.amdgcn_target "amdgcn-amd-amdhsa--gfx1030"
	.amdhsa_code_object_version 6
	.protected	fft_rtc_back_len1638_factors_13_2_3_7_3_wgs_182_tpt_182_halfLds_dp_op_CI_CI_unitstride_sbrr_C2R_dirReg ; -- Begin function fft_rtc_back_len1638_factors_13_2_3_7_3_wgs_182_tpt_182_halfLds_dp_op_CI_CI_unitstride_sbrr_C2R_dirReg
	.globl	fft_rtc_back_len1638_factors_13_2_3_7_3_wgs_182_tpt_182_halfLds_dp_op_CI_CI_unitstride_sbrr_C2R_dirReg
	.p2align	8
	.type	fft_rtc_back_len1638_factors_13_2_3_7_3_wgs_182_tpt_182_halfLds_dp_op_CI_CI_unitstride_sbrr_C2R_dirReg,@function
fft_rtc_back_len1638_factors_13_2_3_7_3_wgs_182_tpt_182_halfLds_dp_op_CI_CI_unitstride_sbrr_C2R_dirReg: ; @fft_rtc_back_len1638_factors_13_2_3_7_3_wgs_182_tpt_182_halfLds_dp_op_CI_CI_unitstride_sbrr_C2R_dirReg
; %bb.0:
	s_clause 0x2
	s_load_dwordx4 s[12:15], s[4:5], 0x0
	s_load_dwordx4 s[8:11], s[4:5], 0x58
	;; [unrolled: 1-line block ×3, first 2 shown]
	v_mul_u32_u24_e32 v1, 0x169, v0
	v_mov_b32_e32 v3, 0
	v_add_nc_u32_sdwa v5, s6, v1 dst_sel:DWORD dst_unused:UNUSED_PAD src0_sel:DWORD src1_sel:WORD_1
	v_mov_b32_e32 v1, 0
	v_mov_b32_e32 v6, v3
	v_mov_b32_e32 v2, 0
	s_waitcnt lgkmcnt(0)
	v_cmp_lt_u64_e64 s0, s[14:15], 2
	s_and_b32 vcc_lo, exec_lo, s0
	s_cbranch_vccnz .LBB0_8
; %bb.1:
	s_load_dwordx2 s[0:1], s[4:5], 0x10
	v_mov_b32_e32 v1, 0
	v_mov_b32_e32 v2, 0
	s_add_u32 s2, s18, 8
	s_addc_u32 s3, s19, 0
	s_add_u32 s6, s16, 8
	s_addc_u32 s7, s17, 0
	v_mov_b32_e32 v73, v2
	v_mov_b32_e32 v72, v1
	s_mov_b64 s[22:23], 1
	s_waitcnt lgkmcnt(0)
	s_add_u32 s20, s0, 8
	s_addc_u32 s21, s1, 0
.LBB0_2:                                ; =>This Inner Loop Header: Depth=1
	s_load_dwordx2 s[24:25], s[20:21], 0x0
                                        ; implicit-def: $vgpr74_vgpr75
	s_mov_b32 s0, exec_lo
	s_waitcnt lgkmcnt(0)
	v_or_b32_e32 v4, s25, v6
	v_cmpx_ne_u64_e32 0, v[3:4]
	s_xor_b32 s1, exec_lo, s0
	s_cbranch_execz .LBB0_4
; %bb.3:                                ;   in Loop: Header=BB0_2 Depth=1
	v_cvt_f32_u32_e32 v4, s24
	v_cvt_f32_u32_e32 v7, s25
	s_sub_u32 s0, 0, s24
	s_subb_u32 s26, 0, s25
	v_fmac_f32_e32 v4, 0x4f800000, v7
	v_rcp_f32_e32 v4, v4
	v_mul_f32_e32 v4, 0x5f7ffffc, v4
	v_mul_f32_e32 v7, 0x2f800000, v4
	v_trunc_f32_e32 v7, v7
	v_fmac_f32_e32 v4, 0xcf800000, v7
	v_cvt_u32_f32_e32 v7, v7
	v_cvt_u32_f32_e32 v4, v4
	v_mul_lo_u32 v8, s0, v7
	v_mul_hi_u32 v9, s0, v4
	v_mul_lo_u32 v10, s26, v4
	v_add_nc_u32_e32 v8, v9, v8
	v_mul_lo_u32 v9, s0, v4
	v_add_nc_u32_e32 v8, v8, v10
	v_mul_hi_u32 v10, v4, v9
	v_mul_lo_u32 v11, v4, v8
	v_mul_hi_u32 v12, v4, v8
	v_mul_hi_u32 v13, v7, v9
	v_mul_lo_u32 v9, v7, v9
	v_mul_hi_u32 v14, v7, v8
	v_mul_lo_u32 v8, v7, v8
	v_add_co_u32 v10, vcc_lo, v10, v11
	v_add_co_ci_u32_e32 v11, vcc_lo, 0, v12, vcc_lo
	v_add_co_u32 v9, vcc_lo, v10, v9
	v_add_co_ci_u32_e32 v9, vcc_lo, v11, v13, vcc_lo
	v_add_co_ci_u32_e32 v10, vcc_lo, 0, v14, vcc_lo
	v_add_co_u32 v8, vcc_lo, v9, v8
	v_add_co_ci_u32_e32 v9, vcc_lo, 0, v10, vcc_lo
	v_add_co_u32 v4, vcc_lo, v4, v8
	v_add_co_ci_u32_e32 v7, vcc_lo, v7, v9, vcc_lo
	v_mul_hi_u32 v8, s0, v4
	v_mul_lo_u32 v10, s26, v4
	v_mul_lo_u32 v9, s0, v7
	v_add_nc_u32_e32 v8, v8, v9
	v_mul_lo_u32 v9, s0, v4
	v_add_nc_u32_e32 v8, v8, v10
	v_mul_hi_u32 v10, v4, v9
	v_mul_lo_u32 v11, v4, v8
	v_mul_hi_u32 v12, v4, v8
	v_mul_hi_u32 v13, v7, v9
	v_mul_lo_u32 v9, v7, v9
	v_mul_hi_u32 v14, v7, v8
	v_mul_lo_u32 v8, v7, v8
	v_add_co_u32 v10, vcc_lo, v10, v11
	v_add_co_ci_u32_e32 v11, vcc_lo, 0, v12, vcc_lo
	v_add_co_u32 v9, vcc_lo, v10, v9
	v_add_co_ci_u32_e32 v9, vcc_lo, v11, v13, vcc_lo
	v_add_co_ci_u32_e32 v10, vcc_lo, 0, v14, vcc_lo
	v_add_co_u32 v8, vcc_lo, v9, v8
	v_add_co_ci_u32_e32 v9, vcc_lo, 0, v10, vcc_lo
	v_add_co_u32 v4, vcc_lo, v4, v8
	v_add_co_ci_u32_e32 v11, vcc_lo, v7, v9, vcc_lo
	v_mul_hi_u32 v13, v5, v4
	v_mad_u64_u32 v[9:10], null, v6, v4, 0
	v_mad_u64_u32 v[7:8], null, v5, v11, 0
	;; [unrolled: 1-line block ×3, first 2 shown]
	v_add_co_u32 v4, vcc_lo, v13, v7
	v_add_co_ci_u32_e32 v7, vcc_lo, 0, v8, vcc_lo
	v_add_co_u32 v4, vcc_lo, v4, v9
	v_add_co_ci_u32_e32 v4, vcc_lo, v7, v10, vcc_lo
	v_add_co_ci_u32_e32 v7, vcc_lo, 0, v12, vcc_lo
	v_add_co_u32 v4, vcc_lo, v4, v11
	v_add_co_ci_u32_e32 v9, vcc_lo, 0, v7, vcc_lo
	v_mul_lo_u32 v10, s25, v4
	v_mad_u64_u32 v[7:8], null, s24, v4, 0
	v_mul_lo_u32 v11, s24, v9
	v_sub_co_u32 v7, vcc_lo, v5, v7
	v_add3_u32 v8, v8, v11, v10
	v_sub_nc_u32_e32 v10, v6, v8
	v_subrev_co_ci_u32_e64 v10, s0, s25, v10, vcc_lo
	v_add_co_u32 v11, s0, v4, 2
	v_add_co_ci_u32_e64 v12, s0, 0, v9, s0
	v_sub_co_u32 v13, s0, v7, s24
	v_sub_co_ci_u32_e32 v8, vcc_lo, v6, v8, vcc_lo
	v_subrev_co_ci_u32_e64 v10, s0, 0, v10, s0
	v_cmp_le_u32_e32 vcc_lo, s24, v13
	v_cmp_eq_u32_e64 s0, s25, v8
	v_cndmask_b32_e64 v13, 0, -1, vcc_lo
	v_cmp_le_u32_e32 vcc_lo, s25, v10
	v_cndmask_b32_e64 v14, 0, -1, vcc_lo
	v_cmp_le_u32_e32 vcc_lo, s24, v7
	;; [unrolled: 2-line block ×3, first 2 shown]
	v_cndmask_b32_e64 v15, 0, -1, vcc_lo
	v_cmp_eq_u32_e32 vcc_lo, s25, v10
	v_cndmask_b32_e64 v7, v15, v7, s0
	v_cndmask_b32_e32 v10, v14, v13, vcc_lo
	v_add_co_u32 v13, vcc_lo, v4, 1
	v_add_co_ci_u32_e32 v14, vcc_lo, 0, v9, vcc_lo
	v_cmp_ne_u32_e32 vcc_lo, 0, v10
	v_cndmask_b32_e32 v8, v14, v12, vcc_lo
	v_cndmask_b32_e32 v10, v13, v11, vcc_lo
	v_cmp_ne_u32_e32 vcc_lo, 0, v7
	v_cndmask_b32_e32 v75, v9, v8, vcc_lo
	v_cndmask_b32_e32 v74, v4, v10, vcc_lo
.LBB0_4:                                ;   in Loop: Header=BB0_2 Depth=1
	s_andn2_saveexec_b32 s0, s1
	s_cbranch_execz .LBB0_6
; %bb.5:                                ;   in Loop: Header=BB0_2 Depth=1
	v_cvt_f32_u32_e32 v4, s24
	s_sub_i32 s1, 0, s24
	v_mov_b32_e32 v75, v3
	v_rcp_iflag_f32_e32 v4, v4
	v_mul_f32_e32 v4, 0x4f7ffffe, v4
	v_cvt_u32_f32_e32 v4, v4
	v_mul_lo_u32 v7, s1, v4
	v_mul_hi_u32 v7, v4, v7
	v_add_nc_u32_e32 v4, v4, v7
	v_mul_hi_u32 v4, v5, v4
	v_mul_lo_u32 v7, v4, s24
	v_add_nc_u32_e32 v8, 1, v4
	v_sub_nc_u32_e32 v7, v5, v7
	v_subrev_nc_u32_e32 v9, s24, v7
	v_cmp_le_u32_e32 vcc_lo, s24, v7
	v_cndmask_b32_e32 v7, v7, v9, vcc_lo
	v_cndmask_b32_e32 v4, v4, v8, vcc_lo
	v_cmp_le_u32_e32 vcc_lo, s24, v7
	v_add_nc_u32_e32 v8, 1, v4
	v_cndmask_b32_e32 v74, v4, v8, vcc_lo
.LBB0_6:                                ;   in Loop: Header=BB0_2 Depth=1
	s_or_b32 exec_lo, exec_lo, s0
	v_mul_lo_u32 v4, v75, s24
	v_mul_lo_u32 v9, v74, s25
	s_load_dwordx2 s[0:1], s[6:7], 0x0
	v_mad_u64_u32 v[7:8], null, v74, s24, 0
	s_load_dwordx2 s[24:25], s[2:3], 0x0
	s_add_u32 s22, s22, 1
	s_addc_u32 s23, s23, 0
	s_add_u32 s2, s2, 8
	s_addc_u32 s3, s3, 0
	s_add_u32 s6, s6, 8
	v_add3_u32 v4, v8, v9, v4
	v_sub_co_u32 v5, vcc_lo, v5, v7
	s_addc_u32 s7, s7, 0
	s_add_u32 s20, s20, 8
	v_sub_co_ci_u32_e32 v4, vcc_lo, v6, v4, vcc_lo
	s_addc_u32 s21, s21, 0
	s_waitcnt lgkmcnt(0)
	v_mul_lo_u32 v6, s0, v4
	v_mul_lo_u32 v7, s1, v5
	v_mad_u64_u32 v[1:2], null, s0, v5, v[1:2]
	v_mul_lo_u32 v4, s24, v4
	v_mul_lo_u32 v8, s25, v5
	v_mad_u64_u32 v[72:73], null, s24, v5, v[72:73]
	v_cmp_ge_u64_e64 s0, s[22:23], s[14:15]
	v_add3_u32 v2, v7, v2, v6
	v_add3_u32 v73, v8, v73, v4
	s_and_b32 vcc_lo, exec_lo, s0
	s_cbranch_vccnz .LBB0_9
; %bb.7:                                ;   in Loop: Header=BB0_2 Depth=1
	v_mov_b32_e32 v5, v74
	v_mov_b32_e32 v6, v75
	s_branch .LBB0_2
.LBB0_8:
	v_mov_b32_e32 v73, v2
	v_mov_b32_e32 v75, v6
	;; [unrolled: 1-line block ×4, first 2 shown]
.LBB0_9:
	s_load_dwordx2 s[0:1], s[4:5], 0x28
	v_mul_hi_u32 v3, 0x1681682, v0
	s_lshl_b64 s[4:5], s[14:15], 3
                                        ; implicit-def: $vgpr76
	s_add_u32 s2, s18, s4
	s_addc_u32 s3, s19, s5
	s_waitcnt lgkmcnt(0)
	v_cmp_gt_u64_e32 vcc_lo, s[0:1], v[74:75]
	v_cmp_le_u64_e64 s0, s[0:1], v[74:75]
	s_and_saveexec_b32 s1, s0
	s_xor_b32 s0, exec_lo, s1
; %bb.10:
	v_mul_u32_u24_e32 v1, 0xb6, v3
                                        ; implicit-def: $vgpr3
	v_sub_nc_u32_e32 v76, v0, v1
                                        ; implicit-def: $vgpr0
                                        ; implicit-def: $vgpr1_vgpr2
; %bb.11:
	s_or_saveexec_b32 s1, s0
	s_load_dwordx2 s[2:3], s[2:3], 0x0
	s_xor_b32 exec_lo, exec_lo, s1
	s_cbranch_execz .LBB0_15
; %bb.12:
	s_add_u32 s4, s16, s4
	s_addc_u32 s5, s17, s5
	v_lshlrev_b64 v[1:2], 4, v[1:2]
	s_load_dwordx2 s[4:5], s[4:5], 0x0
	s_waitcnt lgkmcnt(0)
	v_mul_lo_u32 v6, s5, v74
	v_mul_lo_u32 v7, s4, v75
	v_mad_u64_u32 v[4:5], null, s4, v74, 0
	s_mov_b32 s4, exec_lo
	v_add3_u32 v5, v5, v7, v6
	v_mul_u32_u24_e32 v6, 0xb6, v3
	v_lshlrev_b64 v[3:4], 4, v[4:5]
	v_sub_nc_u32_e32 v76, v0, v6
	v_lshlrev_b32_e32 v38, 4, v76
	v_add_co_u32 v0, s0, s8, v3
	v_add_co_ci_u32_e64 v3, s0, s9, v4, s0
	v_add_co_u32 v0, s0, v0, v1
	v_add_co_ci_u32_e64 v1, s0, v3, v2, s0
	;; [unrolled: 2-line block ×3, first 2 shown]
	v_add_nc_u32_e32 v38, 0, v38
	v_add_co_u32 v6, s0, 0x800, v2
	v_add_co_ci_u32_e64 v7, s0, 0, v3, s0
	v_add_co_u32 v10, s0, 0x1000, v2
	v_add_co_ci_u32_e64 v11, s0, 0, v3, s0
	;; [unrolled: 2-line block ×8, first 2 shown]
	s_clause 0x8
	global_load_dwordx4 v[2:5], v[2:3], off
	global_load_dwordx4 v[6:9], v[6:7], off offset:864
	global_load_dwordx4 v[10:13], v[10:11], off offset:1728
	;; [unrolled: 1-line block ×8, first 2 shown]
	s_waitcnt vmcnt(8)
	ds_write_b128 v38, v[2:5]
	s_waitcnt vmcnt(7)
	ds_write_b128 v38, v[6:9] offset:2912
	s_waitcnt vmcnt(6)
	ds_write_b128 v38, v[10:13] offset:5824
	;; [unrolled: 2-line block ×8, first 2 shown]
	v_cmpx_eq_u32_e32 0xb5, v76
	s_cbranch_execz .LBB0_14
; %bb.13:
	v_add_co_u32 v0, s0, 0x6000, v0
	v_add_co_ci_u32_e64 v1, s0, 0, v1, s0
	v_mov_b32_e32 v4, 0
	v_mov_b32_e32 v76, 0xb5
	global_load_dwordx4 v[0:3], v[0:1], off offset:1632
	s_waitcnt vmcnt(0)
	ds_write_b128 v4, v[0:3] offset:26208
.LBB0_14:
	s_or_b32 exec_lo, exec_lo, s4
.LBB0_15:
	s_or_b32 exec_lo, exec_lo, s1
	v_lshlrev_b32_e32 v0, 4, v76
	s_waitcnt lgkmcnt(0)
	s_barrier
	buffer_gl0_inv
	s_add_u32 s1, s12, 0x6590
	v_add_nc_u32_e32 v250, 0, v0
	v_sub_nc_u32_e32 v8, 0, v0
	s_addc_u32 s4, s13, 0
	s_mov_b32 s5, exec_lo
	ds_read_b64 v[4:5], v250
	ds_read_b64 v[6:7], v8 offset:26208
	s_waitcnt lgkmcnt(0)
	v_add_f64 v[0:1], v[4:5], v[6:7]
	v_add_f64 v[2:3], v[4:5], -v[6:7]
	v_cmpx_ne_u32_e32 0, v76
	s_xor_b32 s5, exec_lo, s5
	s_cbranch_execz .LBB0_17
; %bb.16:
	v_mov_b32_e32 v77, 0
	v_add_f64 v[13:14], v[4:5], v[6:7]
	v_add_f64 v[15:16], v[4:5], -v[6:7]
	v_lshlrev_b64 v[0:1], 4, v[76:77]
	v_add_co_u32 v0, s0, s1, v0
	v_add_co_ci_u32_e64 v1, s0, s4, v1, s0
	global_load_dwordx4 v[9:12], v[0:1], off
	ds_read_b64 v[0:1], v8 offset:26216
	ds_read_b64 v[2:3], v250 offset:8
	s_waitcnt lgkmcnt(0)
	v_add_f64 v[4:5], v[0:1], v[2:3]
	v_add_f64 v[0:1], v[2:3], -v[0:1]
	s_waitcnt vmcnt(0)
	v_fma_f64 v[2:3], v[15:16], v[11:12], v[13:14]
	v_fma_f64 v[6:7], -v[15:16], v[11:12], v[13:14]
	v_fma_f64 v[13:14], v[4:5], v[11:12], -v[0:1]
	v_fma_f64 v[11:12], v[4:5], v[11:12], v[0:1]
	v_fma_f64 v[0:1], -v[4:5], v[9:10], v[2:3]
	v_fma_f64 v[4:5], v[4:5], v[9:10], v[6:7]
	v_fma_f64 v[6:7], v[15:16], v[9:10], v[13:14]
	;; [unrolled: 1-line block ×3, first 2 shown]
	ds_write_b128 v8, v[4:7] offset:26208
.LBB0_17:
	s_andn2_saveexec_b32 s0, s5
	s_cbranch_execz .LBB0_19
; %bb.18:
	v_mov_b32_e32 v9, 0
	ds_read_b128 v[4:7], v9 offset:13104
	s_waitcnt lgkmcnt(0)
	v_add_f64 v[4:5], v[4:5], v[4:5]
	v_mul_f64 v[6:7], v[6:7], -2.0
	ds_write_b128 v9, v[4:7] offset:13104
.LBB0_19:
	s_or_b32 exec_lo, exec_lo, s0
	v_add_nc_u32_e32 v77, 0xb6, v76
	v_mov_b32_e32 v78, 0
	v_add_nc_u32_e32 v79, 0x16c, v76
	ds_write_b128 v250, v[0:3]
	v_lshlrev_b64 v[4:5], 4, v[77:78]
	v_mov_b32_e32 v80, v78
	v_mov_b32_e32 v81, v78
	v_lshlrev_b64 v[9:10], 4, v[79:80]
	v_add_co_u32 v4, s0, s1, v4
	v_add_co_ci_u32_e64 v5, s0, s4, v5, s0
	v_add_nc_u32_e32 v80, 0x222, v76
	v_add_co_u32 v9, s0, s1, v9
	global_load_dwordx4 v[4:7], v[4:5], off
	v_add_co_ci_u32_e64 v10, s0, s4, v10, s0
	v_lshlrev_b64 v[13:14], 4, v[80:81]
	v_add_nc_u32_e32 v81, 0x2d8, v76
	global_load_dwordx4 v[9:12], v[9:10], off
	v_add_co_u32 v13, s0, s1, v13
	v_add_co_ci_u32_e64 v14, s0, s4, v14, s0
	v_cmp_gt_u32_e64 s0, 0x5b, v76
	global_load_dwordx4 v[13:16], v[13:14], off
	ds_read_b128 v[0:3], v250 offset:2912
	ds_read_b128 v[17:20], v8 offset:23296
	s_waitcnt lgkmcnt(0)
	v_add_f64 v[21:22], v[0:1], v[17:18]
	v_add_f64 v[23:24], v[19:20], v[2:3]
	v_add_f64 v[25:26], v[0:1], -v[17:18]
	v_add_f64 v[0:1], v[2:3], -v[19:20]
	s_waitcnt vmcnt(2)
	v_fma_f64 v[2:3], v[25:26], v[6:7], v[21:22]
	v_fma_f64 v[17:18], v[23:24], v[6:7], v[0:1]
	v_fma_f64 v[19:20], -v[25:26], v[6:7], v[21:22]
	v_fma_f64 v[6:7], v[23:24], v[6:7], -v[0:1]
	v_fma_f64 v[0:1], -v[23:24], v[4:5], v[2:3]
	v_fma_f64 v[2:3], v[25:26], v[4:5], v[17:18]
	v_fma_f64 v[17:18], v[23:24], v[4:5], v[19:20]
	v_fma_f64 v[19:20], v[25:26], v[4:5], v[6:7]
	ds_write_b128 v250, v[0:3] offset:2912
	ds_write_b128 v8, v[17:20] offset:23296
	ds_read_b128 v[0:3], v250 offset:5824
	ds_read_b128 v[4:7], v8 offset:20384
	s_waitcnt lgkmcnt(0)
	v_add_f64 v[17:18], v[0:1], v[4:5]
	v_add_f64 v[19:20], v[6:7], v[2:3]
	v_add_f64 v[21:22], v[0:1], -v[4:5]
	v_add_f64 v[0:1], v[2:3], -v[6:7]
	s_waitcnt vmcnt(1)
	v_fma_f64 v[2:3], v[21:22], v[11:12], v[17:18]
	v_fma_f64 v[4:5], v[19:20], v[11:12], v[0:1]
	v_fma_f64 v[6:7], -v[21:22], v[11:12], v[17:18]
	v_fma_f64 v[11:12], v[19:20], v[11:12], -v[0:1]
	v_fma_f64 v[0:1], -v[19:20], v[9:10], v[2:3]
	v_fma_f64 v[2:3], v[21:22], v[9:10], v[4:5]
	v_fma_f64 v[4:5], v[19:20], v[9:10], v[6:7]
	v_fma_f64 v[6:7], v[21:22], v[9:10], v[11:12]
	ds_write_b128 v250, v[0:3] offset:5824
	ds_write_b128 v8, v[4:7] offset:20384
	ds_read_b128 v[0:3], v250 offset:8736
	ds_read_b128 v[4:7], v8 offset:17472
	s_waitcnt lgkmcnt(0)
	v_add_f64 v[9:10], v[0:1], v[4:5]
	v_add_f64 v[11:12], v[6:7], v[2:3]
	v_add_f64 v[17:18], v[0:1], -v[4:5]
	v_add_f64 v[0:1], v[2:3], -v[6:7]
	s_waitcnt vmcnt(0)
	v_fma_f64 v[2:3], v[17:18], v[15:16], v[9:10]
	v_fma_f64 v[4:5], v[11:12], v[15:16], v[0:1]
	v_fma_f64 v[6:7], -v[17:18], v[15:16], v[9:10]
	v_fma_f64 v[9:10], v[11:12], v[15:16], -v[0:1]
	v_fma_f64 v[0:1], -v[11:12], v[13:14], v[2:3]
	v_fma_f64 v[2:3], v[17:18], v[13:14], v[4:5]
	v_fma_f64 v[4:5], v[11:12], v[13:14], v[6:7]
	v_fma_f64 v[6:7], v[17:18], v[13:14], v[9:10]
	ds_write_b128 v250, v[0:3] offset:8736
	ds_write_b128 v8, v[4:7] offset:17472
	s_and_saveexec_b32 s5, s0
	s_cbranch_execz .LBB0_21
; %bb.20:
	v_mov_b32_e32 v82, v78
	v_lshlrev_b64 v[0:1], 4, v[81:82]
	v_add_co_u32 v0, s1, s1, v0
	v_add_co_ci_u32_e64 v1, s1, s4, v1, s1
	global_load_dwordx4 v[0:3], v[0:1], off
	ds_read_b128 v[4:7], v250 offset:11648
	ds_read_b128 v[9:12], v8 offset:14560
	s_waitcnt lgkmcnt(0)
	v_add_f64 v[13:14], v[4:5], v[9:10]
	v_add_f64 v[15:16], v[11:12], v[6:7]
	v_add_f64 v[17:18], v[4:5], -v[9:10]
	v_add_f64 v[4:5], v[6:7], -v[11:12]
	s_waitcnt vmcnt(0)
	v_fma_f64 v[6:7], v[17:18], v[2:3], v[13:14]
	v_fma_f64 v[9:10], v[15:16], v[2:3], v[4:5]
	v_fma_f64 v[11:12], -v[17:18], v[2:3], v[13:14]
	v_fma_f64 v[13:14], v[15:16], v[2:3], -v[4:5]
	v_fma_f64 v[2:3], -v[15:16], v[0:1], v[6:7]
	v_fma_f64 v[4:5], v[17:18], v[0:1], v[9:10]
	v_fma_f64 v[9:10], v[15:16], v[0:1], v[11:12]
	;; [unrolled: 1-line block ×3, first 2 shown]
	ds_write_b128 v250, v[2:5] offset:11648
	ds_write_b128 v8, v[9:12] offset:14560
.LBB0_21:
	s_or_b32 exec_lo, exec_lo, s5
	s_waitcnt lgkmcnt(0)
	s_barrier
	buffer_gl0_inv
	s_barrier
	buffer_gl0_inv
	ds_read_b128 v[32:35], v250 offset:2016
	ds_read_b128 v[12:15], v250 offset:24192
	;; [unrolled: 1-line block ×4, first 2 shown]
	ds_read_b128 v[24:27], v250
	s_mov_b32 s18, 0x4267c47c
	s_mov_b32 s19, 0xbfddbe06
	ds_read_b128 v[44:47], v250 offset:6048
	ds_read_b128 v[36:39], v250 offset:20160
	s_mov_b32 s4, 0xe00740e9
	s_mov_b32 s14, 0x42a4c3d2
	;; [unrolled: 1-line block ×8, first 2 shown]
	ds_read_b128 v[48:51], v250 offset:18144
	ds_read_b128 v[60:63], v250 offset:8064
	;; [unrolled: 1-line block ×3, first 2 shown]
	s_mov_b32 s8, 0xebaa3ed8
	s_mov_b32 s9, 0x3fbedb7d
	;; [unrolled: 1-line block ×3, first 2 shown]
	s_waitcnt lgkmcnt(8)
	v_add_f64 v[98:99], v[34:35], -v[14:15]
	v_add_f64 v[112:113], v[34:35], v[14:15]
	v_add_f64 v[102:103], v[32:33], v[12:13]
	s_waitcnt lgkmcnt(6)
	v_add_f64 v[84:85], v[42:43], -v[18:19]
	v_add_f64 v[108:109], v[32:33], -v[12:13]
	v_add_f64 v[82:83], v[42:43], v[18:19]
	v_add_f64 v[86:87], v[40:41], v[16:17]
	s_waitcnt lgkmcnt(3)
	v_add_f64 v[94:95], v[46:47], -v[38:39]
	v_add_f64 v[90:91], v[40:41], -v[16:17]
	v_add_f64 v[88:89], v[44:45], v[36:37]
	v_add_f64 v[92:93], v[46:47], v[38:39]
	v_add_f64 v[96:97], v[44:45], -v[36:37]
	s_mov_b32 s21, 0xbfedeba7
	ds_read_b128 v[52:55], v250 offset:16128
	s_mov_b32 s16, 0xb2365da1
	s_waitcnt lgkmcnt(2)
	v_add_f64 v[114:115], v[62:63], -v[50:51]
	v_add_f64 v[100:101], v[60:61], v[48:49]
	v_add_f64 v[104:105], v[62:63], v[50:51]
	s_mov_b32 s17, 0xbfd6b1d8
	v_add_f64 v[116:117], v[60:61], -v[48:49]
	s_mov_b32 s26, 0x24c2f84
	s_mov_b32 s27, 0xbfe5384d
	v_mul_f64 v[106:107], v[98:99], s[18:19]
	v_mul_f64 v[110:111], v[112:113], s[4:5]
	ds_read_b128 v[68:71], v250 offset:12096
	ds_read_b128 v[64:67], v250 offset:14112
	v_mul_f64 v[124:125], v[84:85], s[14:15]
	s_mov_b32 s24, 0xd0032e0c
	v_mul_f64 v[126:127], v[82:83], s[6:7]
	s_mov_b32 s25, 0xbfe7f3cc
	;; [unrolled: 2-line block ×3, first 2 shown]
	s_mov_b32 s35, 0xbfcea1e5
	v_mul_f64 v[136:137], v[92:93], s[8:9]
	s_waitcnt lgkmcnt(2)
	v_add_f64 v[122:123], v[58:59], -v[54:55]
	v_add_f64 v[118:119], v[56:57], v[52:53]
	v_add_f64 v[120:121], v[58:59], v[54:55]
	v_add_f64 v[128:129], v[56:57], -v[52:53]
	v_mul_f64 v[142:143], v[114:115], s[20:21]
	s_mov_b32 s28, 0x93053d00
	v_mul_f64 v[144:145], v[104:105], s[16:17]
	s_mov_b32 s29, 0xbfef11f4
	v_mul_f64 v[162:163], v[98:99], s[14:15]
	v_mul_f64 v[152:153], v[84:85], s[20:21]
	;; [unrolled: 1-line block ×3, first 2 shown]
	v_fma_f64 v[0:1], v[102:103], s[4:5], -v[106:107]
	v_fma_f64 v[2:3], v[108:109], s[18:19], v[110:111]
	s_waitcnt lgkmcnt(0)
	v_add_f64 v[138:139], v[70:71], -v[66:67]
	v_fma_f64 v[4:5], v[86:87], s[6:7], -v[124:125]
	v_add_f64 v[130:131], v[68:69], v[64:65]
	v_fma_f64 v[6:7], v[90:91], s[14:15], v[126:127]
	v_add_f64 v[134:135], v[70:71], v[66:67]
	v_add_f64 v[140:141], v[68:69], -v[64:65]
	v_mul_f64 v[158:159], v[82:83], s[16:17]
	v_mul_f64 v[154:155], v[94:95], s[34:35]
	v_mul_f64 v[160:161], v[92:93], s[28:29]
	v_mul_f64 v[146:147], v[122:123], s[26:27]
	s_mov_b32 s39, 0x3fe5384d
	v_mul_f64 v[148:149], v[120:121], s[24:25]
	s_mov_b32 s38, s26
	v_mul_f64 v[168:169], v[104:105], s[24:25]
	v_mul_f64 v[166:167], v[114:115], s[38:39]
	s_mov_b32 s31, 0x3fefc445
	s_mov_b32 s30, s22
	v_mul_f64 v[172:173], v[120:121], s[8:9]
	v_mul_f64 v[170:171], v[122:123], s[30:31]
	s_mov_b32 s37, 0x3fddbe06
	v_add_f64 v[0:1], v[24:25], v[0:1]
	v_add_f64 v[2:3], v[26:27], v[2:3]
	v_mul_f64 v[150:151], v[138:139], s[34:35]
	s_mov_b32 s36, s18
	v_mul_f64 v[182:183], v[98:99], s[22:23]
	v_mul_f64 v[174:175], v[138:139], s[36:37]
	;; [unrolled: 1-line block ×4, first 2 shown]
	v_fma_f64 v[8:9], v[90:91], s[20:21], v[158:159]
	v_mul_f64 v[176:177], v[84:85], s[34:35]
	v_mul_f64 v[192:193], v[112:113], s[8:9]
	;; [unrolled: 1-line block ×3, first 2 shown]
	s_mov_b32 s41, 0x3fedeba7
	s_mov_b32 s40, s20
	v_mul_f64 v[194:195], v[92:93], s[16:17]
	v_mul_f64 v[184:185], v[94:95], s[40:41]
	;; [unrolled: 1-line block ×8, first 2 shown]
	v_add_f64 v[0:1], v[4:5], v[0:1]
	v_fma_f64 v[4:5], v[88:89], s[8:9], -v[132:133]
	v_add_f64 v[2:3], v[6:7], v[2:3]
	v_fma_f64 v[6:7], v[86:87], s[16:17], -v[152:153]
	v_mul_f64 v[228:229], v[98:99], s[20:21]
	v_mul_f64 v[202:203], v[84:85], s[38:39]
	;; [unrolled: 1-line block ×5, first 2 shown]
	v_fma_f64 v[10:11], v[86:87], s[28:29], -v[176:177]
	v_mul_f64 v[214:215], v[92:93], s[4:5]
	v_fma_f64 v[20:21], v[90:91], s[34:35], v[180:181]
	v_mul_f64 v[206:207], v[114:115], s[22:23]
	v_mul_f64 v[216:217], v[104:105], s[8:9]
	s_mov_b32 s45, 0x3fcea1e5
	s_mov_b32 s44, s34
	v_mul_f64 v[218:219], v[120:121], s[28:29]
	v_mul_f64 v[210:211], v[122:123], s[44:45]
	s_mov_b32 s43, 0x3fea55e2
	s_mov_b32 s42, s14
	v_mul_f64 v[220:221], v[134:135], s[6:7]
	v_mul_f64 v[212:213], v[138:139], s[42:43]
	;; [unrolled: 1-line block ×3, first 2 shown]
	v_add_f64 v[0:1], v[4:5], v[0:1]
	v_fma_f64 v[4:5], v[96:97], s[22:23], v[136:137]
	v_mul_f64 v[222:223], v[84:85], s[30:31]
	v_mul_f64 v[248:249], v[112:113], s[24:25]
	v_fma_f64 v[22:23], v[86:87], s[24:25], -v[202:203]
	v_mul_f64 v[224:225], v[82:83], s[8:9]
	v_fma_f64 v[28:29], v[90:91], s[38:39], v[208:209]
	s_mov_b32 s33, exec_lo
	s_barrier
	buffer_gl0_inv
	v_add_f64 v[2:3], v[4:5], v[2:3]
	v_fma_f64 v[4:5], v[100:101], s[16:17], -v[142:143]
	v_fma_f64 v[30:31], v[86:87], s[8:9], -v[222:223]
	v_fma_f64 v[226:227], v[90:91], s[30:31], v[224:225]
	v_add_f64 v[0:1], v[4:5], v[0:1]
	v_fma_f64 v[4:5], v[116:117], s[20:21], v[144:145]
	v_add_f64 v[2:3], v[4:5], v[2:3]
	v_fma_f64 v[4:5], v[118:119], s[24:25], -v[146:147]
	v_add_f64 v[0:1], v[4:5], v[0:1]
	v_fma_f64 v[4:5], v[128:129], s[26:27], v[148:149]
	v_add_f64 v[2:3], v[4:5], v[2:3]
	v_fma_f64 v[4:5], v[130:131], s[28:29], -v[150:151]
	v_add_f64 v[0:1], v[4:5], v[0:1]
	v_fma_f64 v[4:5], v[140:141], s[34:35], v[156:157]
	v_add_f64 v[2:3], v[4:5], v[2:3]
	v_fma_f64 v[4:5], v[102:103], s[6:7], -v[162:163]
	v_add_f64 v[4:5], v[24:25], v[4:5]
	v_add_f64 v[4:5], v[6:7], v[4:5]
	v_fma_f64 v[6:7], v[108:109], s[14:15], v[164:165]
	v_add_f64 v[6:7], v[26:27], v[6:7]
	v_add_f64 v[6:7], v[8:9], v[6:7]
	v_fma_f64 v[8:9], v[88:89], s[28:29], -v[154:155]
	v_add_f64 v[4:5], v[8:9], v[4:5]
	v_fma_f64 v[8:9], v[96:97], s[34:35], v[160:161]
	v_add_f64 v[6:7], v[8:9], v[6:7]
	v_fma_f64 v[8:9], v[100:101], s[24:25], -v[166:167]
	v_add_f64 v[4:5], v[8:9], v[4:5]
	v_fma_f64 v[8:9], v[116:117], s[38:39], v[168:169]
	v_add_f64 v[6:7], v[8:9], v[6:7]
	v_fma_f64 v[8:9], v[118:119], s[8:9], -v[170:171]
	v_add_f64 v[4:5], v[8:9], v[4:5]
	v_fma_f64 v[8:9], v[128:129], s[30:31], v[172:173]
	v_add_f64 v[6:7], v[8:9], v[6:7]
	v_fma_f64 v[8:9], v[130:131], s[4:5], -v[174:175]
	v_add_f64 v[4:5], v[8:9], v[4:5]
	v_fma_f64 v[8:9], v[140:141], s[36:37], v[178:179]
	v_add_f64 v[6:7], v[8:9], v[6:7]
	v_fma_f64 v[8:9], v[102:103], s[8:9], -v[182:183]
	v_add_f64 v[8:9], v[24:25], v[8:9]
	v_add_f64 v[8:9], v[10:11], v[8:9]
	v_fma_f64 v[10:11], v[108:109], s[22:23], v[192:193]
	v_add_f64 v[10:11], v[26:27], v[10:11]
	v_add_f64 v[10:11], v[20:21], v[10:11]
	v_fma_f64 v[20:21], v[88:89], s[16:17], -v[184:185]
	v_add_f64 v[8:9], v[20:21], v[8:9]
	v_fma_f64 v[20:21], v[96:97], s[40:41], v[194:195]
	v_add_f64 v[10:11], v[20:21], v[10:11]
	v_fma_f64 v[20:21], v[100:101], s[4:5], -v[188:189]
	;; [unrolled: 22-line block ×3, first 2 shown]
	v_add_f64 v[20:21], v[28:29], v[20:21]
	v_fma_f64 v[28:29], v[116:117], s[22:23], v[216:217]
	v_add_f64 v[22:23], v[28:29], v[22:23]
	v_fma_f64 v[28:29], v[118:119], s[28:29], -v[210:211]
	v_add_f64 v[20:21], v[28:29], v[20:21]
	v_fma_f64 v[28:29], v[128:129], s[44:45], v[218:219]
	v_add_f64 v[22:23], v[28:29], v[22:23]
	v_fma_f64 v[28:29], v[130:131], s[6:7], -v[212:213]
	;; [unrolled: 4-line block ×3, first 2 shown]
	v_add_f64 v[28:29], v[24:25], v[28:29]
	v_add_f64 v[28:29], v[30:31], v[28:29]
	v_fma_f64 v[30:31], v[108:109], s[26:27], v[248:249]
	v_add_f64 v[30:31], v[26:27], v[30:31]
	v_add_f64 v[30:31], v[226:227], v[30:31]
	v_mul_f64 v[226:227], v[94:95], s[14:15]
	v_fma_f64 v[230:231], v[88:89], s[6:7], -v[226:227]
	v_add_f64 v[28:29], v[230:231], v[28:29]
	v_mul_f64 v[230:231], v[92:93], s[6:7]
	v_fma_f64 v[234:235], v[96:97], s[14:15], v[230:231]
	v_add_f64 v[30:31], v[234:235], v[30:31]
	v_mul_f64 v[234:235], v[114:115], s[44:45]
	v_fma_f64 v[236:237], v[100:101], s[28:29], -v[234:235]
	v_add_f64 v[28:29], v[236:237], v[28:29]
	v_mul_f64 v[236:237], v[104:105], s[28:29]
	v_fma_f64 v[238:239], v[116:117], s[44:45], v[236:237]
	v_add_f64 v[30:31], v[238:239], v[30:31]
	v_mul_f64 v[238:239], v[122:123], s[36:37]
	v_fma_f64 v[240:241], v[118:119], s[4:5], -v[238:239]
	v_add_f64 v[28:29], v[240:241], v[28:29]
	v_mul_f64 v[240:241], v[120:121], s[4:5]
	v_fma_f64 v[242:243], v[128:129], s[36:37], v[240:241]
	v_add_f64 v[30:31], v[242:243], v[30:31]
	v_mul_f64 v[242:243], v[138:139], s[20:21]
	v_fma_f64 v[244:245], v[130:131], s[16:17], -v[242:243]
	v_add_f64 v[28:29], v[244:245], v[28:29]
	v_mul_f64 v[244:245], v[134:135], s[16:17]
	v_fma_f64 v[251:252], v[140:141], s[20:21], v[244:245]
	v_add_f64 v[30:31], v[251:252], v[30:31]
	v_cmpx_gt_u32_e32 0x7e, v76
	s_cbranch_execz .LBB0_23
; %bb.22:
	v_add_f64 v[32:33], v[24:25], v[32:33]
	v_add_f64 v[34:35], v[26:27], v[34:35]
	;; [unrolled: 1-line block ×4, first 2 shown]
	v_mul_f64 v[40:41], v[108:109], s[22:23]
	v_mul_f64 v[42:43], v[102:103], s[8:9]
	v_add_f64 v[32:33], v[32:33], v[44:45]
	v_add_f64 v[34:35], v[34:35], v[46:47]
	v_mul_f64 v[44:45], v[108:109], s[14:15]
	v_mul_f64 v[46:47], v[102:103], s[6:7]
	v_add_f64 v[40:41], v[192:193], -v[40:41]
	v_add_f64 v[42:43], v[42:43], v[182:183]
	v_add_f64 v[32:33], v[32:33], v[60:61]
	;; [unrolled: 1-line block ×3, first 2 shown]
	v_add_f64 v[44:45], v[164:165], -v[44:45]
	v_add_f64 v[46:47], v[46:47], v[162:163]
	v_add_f64 v[32:33], v[32:33], v[56:57]
	;; [unrolled: 1-line block ×5, first 2 shown]
	v_mul_f64 v[70:71], v[140:141], s[30:31]
	v_add_f64 v[32:33], v[32:33], v[64:65]
	v_add_f64 v[34:35], v[34:35], v[66:67]
	v_mul_f64 v[64:65], v[128:129], s[26:27]
	v_add_f64 v[32:33], v[32:33], v[52:53]
	v_add_f64 v[34:35], v[34:35], v[54:55]
	v_mul_f64 v[54:55], v[102:103], s[4:5]
	v_add_f64 v[64:65], v[148:149], -v[64:65]
	v_add_f64 v[32:33], v[32:33], v[48:49]
	v_add_f64 v[34:35], v[34:35], v[50:51]
	v_mul_f64 v[48:49], v[108:109], s[18:19]
	v_mul_f64 v[50:51], v[98:99], s[34:35]
	v_add_f64 v[54:55], v[54:55], v[106:107]
	v_add_f64 v[32:33], v[32:33], v[36:37]
	;; [unrolled: 1-line block ×3, first 2 shown]
	v_mul_f64 v[36:37], v[108:109], s[20:21]
	v_mul_f64 v[38:39], v[102:103], s[16:17]
	v_add_f64 v[48:49], v[110:111], -v[48:49]
	v_fma_f64 v[52:53], v[102:103], s[28:29], -v[50:51]
	v_fma_f64 v[50:51], v[102:103], s[28:29], v[50:51]
	v_add_f64 v[16:17], v[32:33], v[16:17]
	v_add_f64 v[18:19], v[34:35], v[18:19]
	v_mul_f64 v[32:33], v[108:109], s[26:27]
	v_mul_f64 v[34:35], v[102:103], s[24:25]
	v_add_f64 v[36:37], v[232:233], -v[36:37]
	v_add_f64 v[38:39], v[38:39], v[228:229]
	v_add_f64 v[52:53], v[24:25], v[52:53]
	;; [unrolled: 1-line block ×4, first 2 shown]
	v_mul_f64 v[16:17], v[108:109], s[34:35]
	v_add_f64 v[14:15], v[18:19], v[14:15]
	v_add_f64 v[32:33], v[248:249], -v[32:33]
	v_add_f64 v[34:35], v[34:35], v[246:247]
	v_add_f64 v[36:37], v[26:27], v[36:37]
	;; [unrolled: 1-line block ×3, first 2 shown]
	v_fma_f64 v[18:19], v[112:113], s[28:29], v[16:17]
	v_fma_f64 v[16:17], v[112:113], s[28:29], -v[16:17]
	v_add_f64 v[60:61], v[26:27], v[32:33]
	v_add_f64 v[62:63], v[24:25], v[34:35]
	v_add_f64 v[32:33], v[26:27], v[40:41]
	v_add_f64 v[34:35], v[24:25], v[42:43]
	v_add_f64 v[40:41], v[26:27], v[44:45]
	v_add_f64 v[42:43], v[24:25], v[46:47]
	v_mul_f64 v[44:45], v[96:97], s[22:23]
	v_mul_f64 v[46:47], v[88:89], s[8:9]
	v_add_f64 v[56:57], v[26:27], v[18:19]
	v_add_f64 v[58:59], v[26:27], v[16:17]
	;; [unrolled: 1-line block ×4, first 2 shown]
	v_mul_f64 v[24:25], v[90:91], s[14:15]
	v_mul_f64 v[26:27], v[86:87], s[6:7]
	;; [unrolled: 1-line block ×4, first 2 shown]
	v_add_f64 v[44:45], v[136:137], -v[44:45]
	v_add_f64 v[46:47], v[46:47], v[132:133]
	v_add_f64 v[24:25], v[126:127], -v[24:25]
	v_add_f64 v[26:27], v[26:27], v[124:125]
	;; [unrolled: 2-line block ×3, first 2 shown]
	v_add_f64 v[16:17], v[24:25], v[16:17]
	v_add_f64 v[18:19], v[26:27], v[18:19]
	v_mul_f64 v[24:25], v[118:119], s[24:25]
	v_mul_f64 v[26:27], v[140:141], s[34:35]
	v_add_f64 v[16:17], v[44:45], v[16:17]
	v_add_f64 v[18:19], v[46:47], v[18:19]
	v_add_f64 v[24:25], v[24:25], v[146:147]
	v_mul_f64 v[44:45], v[130:131], s[28:29]
	v_add_f64 v[26:27], v[156:157], -v[26:27]
	v_mul_f64 v[46:47], v[88:89], s[28:29]
	v_add_f64 v[16:17], v[48:49], v[16:17]
	v_add_f64 v[18:19], v[54:55], v[18:19]
	v_mul_f64 v[48:49], v[116:117], s[38:39]
	v_add_f64 v[44:45], v[44:45], v[150:151]
	v_mul_f64 v[54:55], v[100:101], s[24:25]
	v_add_f64 v[46:47], v[46:47], v[154:155]
	v_add_f64 v[16:17], v[64:65], v[16:17]
	v_add_f64 v[24:25], v[24:25], v[18:19]
	v_add_f64 v[48:49], v[168:169], -v[48:49]
	v_mul_f64 v[64:65], v[128:129], s[30:31]
	v_add_f64 v[54:55], v[54:55], v[166:167]
	v_add_f64 v[18:19], v[26:27], v[16:17]
	v_add_f64 v[16:17], v[44:45], v[24:25]
	v_mul_f64 v[24:25], v[90:91], s[20:21]
	v_mul_f64 v[26:27], v[86:87], s[16:17]
	v_mul_f64 v[44:45], v[96:97], s[34:35]
	v_add_f64 v[64:65], v[172:173], -v[64:65]
	v_add_f64 v[24:25], v[158:159], -v[24:25]
	v_add_f64 v[26:27], v[26:27], v[152:153]
	v_add_f64 v[44:45], v[160:161], -v[44:45]
	v_add_f64 v[24:25], v[24:25], v[40:41]
	v_add_f64 v[26:27], v[26:27], v[42:43]
	v_mul_f64 v[40:41], v[118:119], s[8:9]
	v_mul_f64 v[42:43], v[140:141], s[36:37]
	v_add_f64 v[24:25], v[44:45], v[24:25]
	v_add_f64 v[26:27], v[46:47], v[26:27]
	v_add_f64 v[40:41], v[40:41], v[170:171]
	v_mul_f64 v[44:45], v[130:131], s[4:5]
	v_add_f64 v[42:43], v[178:179], -v[42:43]
	v_mul_f64 v[46:47], v[88:89], s[16:17]
	v_add_f64 v[24:25], v[48:49], v[24:25]
	v_add_f64 v[26:27], v[54:55], v[26:27]
	v_mul_f64 v[48:49], v[116:117], s[36:37]
	v_add_f64 v[44:45], v[44:45], v[174:175]
	v_mul_f64 v[54:55], v[100:101], s[4:5]
	v_add_f64 v[46:47], v[46:47], v[184:185]
	v_add_f64 v[24:25], v[64:65], v[24:25]
	v_add_f64 v[40:41], v[40:41], v[26:27]
	v_add_f64 v[48:49], v[196:197], -v[48:49]
	v_mul_f64 v[64:65], v[128:129], s[14:15]
	v_add_f64 v[54:55], v[54:55], v[188:189]
	v_add_f64 v[26:27], v[42:43], v[24:25]
	v_add_f64 v[24:25], v[44:45], v[40:41]
	v_mul_f64 v[40:41], v[90:91], s[34:35]
	v_mul_f64 v[42:43], v[86:87], s[28:29]
	v_mul_f64 v[44:45], v[96:97], s[40:41]
	v_add_f64 v[64:65], v[200:201], -v[64:65]
	v_add_f64 v[40:41], v[180:181], -v[40:41]
	v_add_f64 v[42:43], v[42:43], v[176:177]
	v_add_f64 v[44:45], v[194:195], -v[44:45]
	;; [unrolled: 30-line block ×3, first 2 shown]
	v_add_f64 v[36:37], v[40:41], v[36:37]
	v_add_f64 v[38:39], v[44:45], v[38:39]
	v_mul_f64 v[40:41], v[118:119], s[28:29]
	v_mul_f64 v[44:45], v[130:131], s[6:7]
	v_add_f64 v[36:37], v[42:43], v[36:37]
	v_add_f64 v[38:39], v[46:47], v[38:39]
	;; [unrolled: 1-line block ×3, first 2 shown]
	v_mul_f64 v[42:43], v[140:141], s[42:43]
	v_add_f64 v[44:45], v[44:45], v[212:213]
	v_mul_f64 v[46:47], v[86:87], s[8:9]
	v_add_f64 v[36:37], v[48:49], v[36:37]
	v_add_f64 v[38:39], v[54:55], v[38:39]
	v_mul_f64 v[48:49], v[116:117], s[44:45]
	v_add_f64 v[42:43], v[220:221], -v[42:43]
	v_mul_f64 v[54:55], v[100:101], s[28:29]
	v_add_f64 v[46:47], v[46:47], v[222:223]
	v_add_f64 v[36:37], v[64:65], v[36:37]
	;; [unrolled: 1-line block ×3, first 2 shown]
	v_add_f64 v[48:49], v[236:237], -v[48:49]
	v_mul_f64 v[64:65], v[128:129], s[36:37]
	v_add_f64 v[54:55], v[54:55], v[234:235]
	v_add_f64 v[46:47], v[46:47], v[62:63]
	;; [unrolled: 1-line block ×4, first 2 shown]
	v_mul_f64 v[40:41], v[90:91], s[30:31]
	v_mul_f64 v[42:43], v[96:97], s[14:15]
	;; [unrolled: 1-line block ×3, first 2 shown]
	v_add_f64 v[64:65], v[240:241], -v[64:65]
	v_add_f64 v[40:41], v[224:225], -v[40:41]
	;; [unrolled: 1-line block ×3, first 2 shown]
	v_add_f64 v[44:45], v[44:45], v[226:227]
	v_add_f64 v[40:41], v[40:41], v[60:61]
	v_mul_f64 v[60:61], v[118:119], s[4:5]
	v_add_f64 v[40:41], v[42:43], v[40:41]
	v_add_f64 v[42:43], v[44:45], v[46:47]
	;; [unrolled: 1-line block ×3, first 2 shown]
	v_mul_f64 v[44:45], v[140:141], s[20:21]
	v_mul_f64 v[46:47], v[130:131], s[16:17]
	v_add_f64 v[40:41], v[48:49], v[40:41]
	v_add_f64 v[42:43], v[54:55], v[42:43]
	v_mul_f64 v[54:55], v[84:85], s[36:37]
	v_add_f64 v[44:45], v[244:245], -v[44:45]
	v_add_f64 v[46:47], v[46:47], v[242:243]
	v_mul_f64 v[84:85], v[138:139], s[30:31]
	v_add_f64 v[40:41], v[64:65], v[40:41]
	v_add_f64 v[48:49], v[60:61], v[42:43]
	;; [unrolled: 1-line block ×4, first 2 shown]
	v_mul_f64 v[48:49], v[90:91], s[36:37]
	v_fma_f64 v[46:47], v[86:87], s[4:5], v[54:55]
	v_fma_f64 v[54:55], v[86:87], s[4:5], -v[54:55]
	v_fma_f64 v[44:45], v[82:83], s[4:5], -v[48:49]
	v_add_f64 v[46:47], v[46:47], v[50:51]
	v_mul_f64 v[50:51], v[96:97], s[26:27]
	v_fma_f64 v[48:49], v[82:83], s[4:5], v[48:49]
	v_add_f64 v[52:53], v[54:55], v[52:53]
	v_add_f64 v[44:45], v[44:45], v[58:59]
	v_fma_f64 v[58:59], v[92:93], s[24:25], -v[50:51]
	v_fma_f64 v[50:51], v[92:93], s[24:25], v[50:51]
	v_add_f64 v[48:49], v[48:49], v[56:57]
	v_add_f64 v[44:45], v[58:59], v[44:45]
	v_mul_f64 v[58:59], v[94:95], s[26:27]
	v_add_f64 v[48:49], v[50:51], v[48:49]
	v_fma_f64 v[60:61], v[88:89], s[24:25], v[58:59]
	v_fma_f64 v[54:55], v[88:89], s[24:25], -v[58:59]
	v_add_f64 v[46:47], v[60:61], v[46:47]
	v_mul_f64 v[60:61], v[116:117], s[42:43]
	v_add_f64 v[50:51], v[54:55], v[52:53]
	v_fma_f64 v[62:63], v[104:105], s[6:7], -v[60:61]
	v_fma_f64 v[56:57], v[104:105], s[6:7], v[60:61]
	v_add_f64 v[44:45], v[62:63], v[44:45]
	v_mul_f64 v[62:63], v[114:115], s[42:43]
	v_add_f64 v[48:49], v[56:57], v[48:49]
	v_fma_f64 v[56:57], v[134:135], s[8:9], v[70:71]
	v_fma_f64 v[64:65], v[100:101], s[6:7], v[62:63]
	v_fma_f64 v[52:53], v[100:101], s[6:7], -v[62:63]
	v_add_f64 v[46:47], v[64:65], v[46:47]
	v_mul_f64 v[64:65], v[128:129], s[20:21]
	v_add_f64 v[50:51], v[52:53], v[50:51]
	v_fma_f64 v[66:67], v[120:121], s[16:17], -v[64:65]
	v_fma_f64 v[54:55], v[120:121], s[16:17], v[64:65]
	v_add_f64 v[44:45], v[66:67], v[44:45]
	v_mul_f64 v[66:67], v[122:123], s[20:21]
	v_add_f64 v[48:49], v[54:55], v[48:49]
	v_fma_f64 v[54:55], v[130:131], s[8:9], -v[84:85]
	v_fma_f64 v[68:69], v[118:119], s[16:17], v[66:67]
	v_fma_f64 v[52:53], v[118:119], s[16:17], -v[66:67]
	v_add_f64 v[68:69], v[68:69], v[46:47]
	v_fma_f64 v[46:47], v[134:135], s[8:9], -v[70:71]
	v_add_f64 v[52:53], v[52:53], v[50:51]
	v_add_f64 v[50:51], v[56:57], v[48:49]
	;; [unrolled: 1-line block ×3, first 2 shown]
	v_fma_f64 v[44:45], v[130:131], s[8:9], v[84:85]
	v_add_f64 v[48:49], v[54:55], v[52:53]
	v_mad_u32_u24 v52, 0xc0, v76, v250
	v_add_f64 v[44:45], v[44:45], v[68:69]
	ds_write_b128 v52, v[12:15]
	ds_write_b128 v52, v[16:19] offset:16
	ds_write_b128 v52, v[24:27] offset:32
	ds_write_b128 v52, v[32:35] offset:48
	ds_write_b128 v52, v[36:39] offset:64
	ds_write_b128 v52, v[40:43] offset:80
	ds_write_b128 v52, v[44:47] offset:96
	ds_write_b128 v52, v[48:51] offset:112
	ds_write_b128 v52, v[28:31] offset:128
	ds_write_b128 v52, v[20:23] offset:144
	ds_write_b128 v52, v[8:11] offset:160
	ds_write_b128 v52, v[4:7] offset:176
	ds_write_b128 v52, v[0:3] offset:192
.LBB0_23:
	s_or_b32 exec_lo, exec_lo, s33
	s_waitcnt lgkmcnt(0)
	s_barrier
	buffer_gl0_inv
	ds_read_b128 v[12:15], v250
	ds_read_b128 v[16:19], v250 offset:2912
	ds_read_b128 v[40:43], v250 offset:13104
	ds_read_b128 v[36:39], v250 offset:16016
	ds_read_b128 v[24:27], v250 offset:5824
	ds_read_b128 v[32:35], v250 offset:8736
	ds_read_b128 v[48:51], v250 offset:18928
	ds_read_b128 v[44:47], v250 offset:21840
	s_and_saveexec_b32 s1, s0
	s_cbranch_execz .LBB0_25
; %bb.24:
	ds_read_b128 v[28:31], v250 offset:11648
	ds_read_b128 v[20:23], v250 offset:24752
.LBB0_25:
	s_or_b32 exec_lo, exec_lo, s1
	v_and_b32_e32 v52, 0xff, v76
	v_mov_b32_e32 v56, 0x4ec5
	v_mul_lo_u16 v55, 0x4f, v52
	v_mul_u32_u24_sdwa v54, v77, v56 dst_sel:DWORD dst_unused:UNUSED_PAD src0_sel:WORD_0 src1_sel:DWORD
	v_mul_u32_u24_sdwa v53, v79, v56 dst_sel:DWORD dst_unused:UNUSED_PAD src0_sel:WORD_0 src1_sel:DWORD
	;; [unrolled: 1-line block ×4, first 2 shown]
	v_lshrrev_b16 v78, 10, v55
	v_lshrrev_b32_e32 v94, 18, v54
	v_lshrrev_b32_e32 v95, 18, v53
	;; [unrolled: 1-line block ×3, first 2 shown]
	v_mov_b32_e32 v52, 4
	v_mul_lo_u16 v57, v78, 13
	v_mul_lo_u16 v58, v94, 13
	;; [unrolled: 1-line block ×4, first 2 shown]
	v_lshrrev_b32_e32 v56, 18, v56
	v_sub_nc_u16 v57, v76, v57
	v_sub_nc_u16 v58, v77, v58
	;; [unrolled: 1-line block ×3, first 2 shown]
	v_lshlrev_b32_sdwa v97, v52, v57 dst_sel:DWORD dst_unused:UNUSED_PAD src0_sel:DWORD src1_sel:BYTE_0
	v_lshlrev_b32_sdwa v98, v52, v58 dst_sel:DWORD dst_unused:UNUSED_PAD src0_sel:DWORD src1_sel:WORD_0
	v_sub_nc_u16 v57, v80, v60
	v_lshlrev_b32_sdwa v99, v52, v59 dst_sel:DWORD dst_unused:UNUSED_PAD src0_sel:DWORD src1_sel:WORD_0
	s_clause 0x2
	global_load_dwordx4 v[58:61], v97, s[12:13]
	global_load_dwordx4 v[62:65], v98, s[12:13]
	global_load_dwordx4 v[66:69], v99, s[12:13]
	v_lshlrev_b32_sdwa v100, v52, v57 dst_sel:DWORD dst_unused:UNUSED_PAD src0_sel:DWORD src1_sel:WORD_0
	v_mul_lo_u16 v57, v56, 13
	global_load_dwordx4 v[82:85], v100, s[12:13]
	v_sub_nc_u16 v57, v81, v57
	v_lshlrev_b32_sdwa v57, v52, v57 dst_sel:DWORD dst_unused:UNUSED_PAD src0_sel:DWORD src1_sel:WORD_0
	global_load_dwordx4 v[86:89], v57, s[12:13]
	s_waitcnt vmcnt(0) lgkmcnt(0)
	s_barrier
	buffer_gl0_inv
	v_mul_f64 v[70:71], v[42:43], v[60:61]
	v_mul_f64 v[60:61], v[40:41], v[60:61]
	;; [unrolled: 1-line block ×8, first 2 shown]
	v_fma_f64 v[40:41], v[40:41], v[58:59], v[70:71]
	v_fma_f64 v[42:43], v[42:43], v[58:59], -v[60:61]
	v_fma_f64 v[58:59], v[36:37], v[62:63], v[80:81]
	v_fma_f64 v[60:61], v[38:39], v[62:63], -v[64:65]
	;; [unrolled: 2-line block ×3, first 2 shown]
	v_mul_f64 v[66:67], v[22:23], v[88:89]
	v_mul_f64 v[68:69], v[20:21], v[88:89]
	v_fma_f64 v[62:63], v[44:45], v[82:83], v[92:93]
	v_fma_f64 v[64:65], v[46:47], v[82:83], -v[84:85]
	v_add_f64 v[36:37], v[12:13], -v[40:41]
	v_add_f64 v[38:39], v[14:15], -v[42:43]
	;; [unrolled: 1-line block ×6, first 2 shown]
	v_fma_f64 v[58:59], v[20:21], v[86:87], v[66:67]
	v_fma_f64 v[60:61], v[22:23], v[86:87], -v[68:69]
	v_add_f64 v[48:49], v[32:33], -v[62:63]
	v_add_f64 v[50:51], v[34:35], -v[64:65]
	v_mov_b32_e32 v62, 0x1a0
	v_fma_f64 v[20:21], v[12:13], 2.0, -v[36:37]
	v_fma_f64 v[22:23], v[14:15], 2.0, -v[38:39]
	;; [unrolled: 1-line block ×6, first 2 shown]
	v_add_f64 v[12:13], v[28:29], -v[58:59]
	v_add_f64 v[14:15], v[30:31], -v[60:61]
	v_fma_f64 v[32:33], v[32:33], 2.0, -v[48:49]
	v_fma_f64 v[34:35], v[34:35], 2.0, -v[50:51]
	v_mul_u32_u24_sdwa v58, v78, v62 dst_sel:DWORD dst_unused:UNUSED_PAD src0_sel:WORD_0 src1_sel:DWORD
	v_mul_u32_u24_e32 v59, 0x1a0, v94
	v_mul_u32_u24_e32 v60, 0x1a0, v95
	;; [unrolled: 1-line block ×3, first 2 shown]
	v_add3_u32 v58, 0, v58, v97
	v_add3_u32 v59, 0, v59, v98
	;; [unrolled: 1-line block ×4, first 2 shown]
	ds_write_b128 v58, v[36:39] offset:208
	ds_write_b128 v58, v[20:23]
	ds_write_b128 v59, v[16:19]
	ds_write_b128 v59, v[40:43] offset:208
	ds_write_b128 v60, v[24:27]
	ds_write_b128 v60, v[44:47] offset:208
	;; [unrolled: 2-line block ×3, first 2 shown]
	s_and_saveexec_b32 s1, s0
	s_cbranch_execz .LBB0_27
; %bb.26:
	v_fma_f64 v[18:19], v[30:31], 2.0, -v[14:15]
	v_fma_f64 v[16:17], v[28:29], 2.0, -v[12:13]
	v_mul_lo_u16 v20, v56, 26
	v_lshlrev_b32_sdwa v20, v52, v20 dst_sel:DWORD dst_unused:UNUSED_PAD src0_sel:DWORD src1_sel:WORD_0
	v_add3_u32 v20, 0, v57, v20
	ds_write_b128 v20, v[16:19]
	ds_write_b128 v20, v[12:15] offset:208
.LBB0_27:
	s_or_b32 exec_lo, exec_lo, s1
	v_lshrrev_b16 v71, 11, v55
	v_lshrrev_b32_e32 v78, 19, v54
	v_lshrrev_b32_e32 v92, 19, v53
	v_mov_b32_e32 v24, 5
	s_waitcnt lgkmcnt(0)
	v_mul_lo_u16 v16, v71, 26
	v_mul_lo_u16 v17, v78, 26
	s_barrier
	buffer_gl0_inv
	s_mov_b32 s0, 0xe8584caa
	v_sub_nc_u16 v93, v76, v16
	v_mul_lo_u16 v16, v92, 26
	v_sub_nc_u16 v94, v77, v17
	s_mov_b32 s1, 0xbfebb67a
	s_mov_b32 s5, 0x3febb67a
	v_lshlrev_b32_sdwa v20, v24, v93 dst_sel:DWORD dst_unused:UNUSED_PAD src0_sel:DWORD src1_sel:BYTE_0
	v_sub_nc_u16 v95, v79, v16
	v_lshlrev_b32_sdwa v28, v24, v94 dst_sel:DWORD dst_unused:UNUSED_PAD src0_sel:DWORD src1_sel:WORD_0
	s_mov_b32 s4, s0
	s_clause 0x1
	global_load_dwordx4 v[16:19], v20, s[12:13] offset:208
	global_load_dwordx4 v[20:23], v20, s[12:13] offset:224
	v_lshlrev_b32_sdwa v36, v24, v95 dst_sel:DWORD dst_unused:UNUSED_PAD src0_sel:DWORD src1_sel:WORD_0
	s_clause 0x3
	global_load_dwordx4 v[24:27], v28, s[12:13] offset:208
	global_load_dwordx4 v[28:31], v28, s[12:13] offset:224
	;; [unrolled: 1-line block ×4, first 2 shown]
	ds_read_b128 v[40:43], v250 offset:8736
	ds_read_b128 v[44:47], v250 offset:17472
	;; [unrolled: 1-line block ×7, first 2 shown]
	s_waitcnt vmcnt(5) lgkmcnt(6)
	v_mul_f64 v[69:70], v[42:43], v[18:19]
	s_waitcnt vmcnt(4) lgkmcnt(5)
	v_mul_f64 v[80:81], v[46:47], v[22:23]
	v_mul_f64 v[18:19], v[40:41], v[18:19]
	v_mul_f64 v[22:23], v[44:45], v[22:23]
	s_waitcnt vmcnt(3) lgkmcnt(4)
	v_mul_f64 v[82:83], v[50:51], v[26:27]
	s_waitcnt vmcnt(2) lgkmcnt(3)
	v_mul_f64 v[84:85], v[55:56], v[30:31]
	v_mul_f64 v[26:27], v[48:49], v[26:27]
	v_mul_f64 v[30:31], v[53:54], v[30:31]
	;; [unrolled: 6-line block ×3, first 2 shown]
	v_fma_f64 v[40:41], v[40:41], v[16:17], v[69:70]
	v_fma_f64 v[44:45], v[44:45], v[20:21], v[80:81]
	v_fma_f64 v[42:43], v[42:43], v[16:17], -v[18:19]
	v_fma_f64 v[46:47], v[46:47], v[20:21], -v[22:23]
	v_fma_f64 v[48:49], v[48:49], v[24:25], v[82:83]
	v_fma_f64 v[53:54], v[53:54], v[28:29], v[84:85]
	v_fma_f64 v[24:25], v[50:51], v[24:25], -v[26:27]
	v_fma_f64 v[30:31], v[55:56], v[28:29], -v[30:31]
	;; [unrolled: 4-line block ×3, first 2 shown]
	ds_read_b128 v[16:19], v250
	ds_read_b128 v[20:23], v250 offset:2912
	s_waitcnt lgkmcnt(0)
	s_barrier
	buffer_gl0_inv
	v_add_f64 v[32:33], v[40:41], v[44:45]
	v_add_f64 v[86:87], v[40:41], -v[44:45]
	v_add_f64 v[36:37], v[42:43], v[46:47]
	v_add_f64 v[63:64], v[42:43], -v[46:47]
	;; [unrolled: 2-line block ×4, first 2 shown]
	v_add_f64 v[57:58], v[26:27], v[50:51]
	v_add_f64 v[61:62], v[16:17], v[40:41]
	;; [unrolled: 1-line block ×8, first 2 shown]
	v_fma_f64 v[16:17], v[32:33], -0.5, v[16:17]
	v_fma_f64 v[18:19], v[36:37], -0.5, v[18:19]
	;; [unrolled: 1-line block ×4, first 2 shown]
	v_add_f64 v[55:56], v[28:29], -v[34:35]
	v_fma_f64 v[57:58], v[57:58], -0.5, v[65:66]
	v_add_f64 v[65:66], v[26:27], -v[50:51]
	v_fma_f64 v[59:60], v[59:60], -0.5, v[67:68]
	v_add_f64 v[24:25], v[61:62], v[44:45]
	v_add_f64 v[26:27], v[42:43], v[46:47]
	;; [unrolled: 1-line block ×6, first 2 shown]
	v_mov_b32_e32 v67, 0x4e0
	v_mul_u32_u24_e32 v54, 0x4e0, v78
	v_mul_u32_u24_sdwa v53, v71, v67 dst_sel:DWORD dst_unused:UNUSED_PAD src0_sel:WORD_0 src1_sel:DWORD
	v_fma_f64 v[36:37], v[63:64], s[0:1], v[16:17]
	v_fma_f64 v[38:39], v[86:87], s[4:5], v[18:19]
	;; [unrolled: 1-line block ×12, first 2 shown]
	v_lshlrev_b32_sdwa v55, v52, v93 dst_sel:DWORD dst_unused:UNUSED_PAD src0_sel:DWORD src1_sel:BYTE_0
	v_lshlrev_b32_sdwa v57, v52, v94 dst_sel:DWORD dst_unused:UNUSED_PAD src0_sel:DWORD src1_sel:WORD_0
	v_mul_u32_u24_e32 v56, 0x4e0, v92
	v_lshlrev_b32_sdwa v52, v52, v95 dst_sel:DWORD dst_unused:UNUSED_PAD src0_sel:DWORD src1_sel:WORD_0
	v_cmp_gt_u32_e64 s0, 52, v76
	v_add3_u32 v53, 0, v53, v55
	v_add3_u32 v54, 0, v54, v57
	;; [unrolled: 1-line block ×3, first 2 shown]
	ds_write_b128 v53, v[24:27]
	ds_write_b128 v53, v[36:39] offset:416
	ds_write_b128 v53, v[40:43] offset:832
	ds_write_b128 v54, v[28:31]
	ds_write_b128 v54, v[44:47] offset:416
	ds_write_b128 v54, v[48:51] offset:832
	;; [unrolled: 3-line block ×3, first 2 shown]
	s_waitcnt lgkmcnt(0)
	s_barrier
	buffer_gl0_inv
	ds_read_b128 v[28:31], v250
	ds_read_b128 v[48:51], v250 offset:3744
	ds_read_b128 v[44:47], v250 offset:7488
	;; [unrolled: 1-line block ×6, first 2 shown]
                                        ; implicit-def: $vgpr26_vgpr27
	s_and_saveexec_b32 s1, s0
	s_cbranch_execz .LBB0_29
; %bb.28:
	ds_read_b128 v[16:19], v250 offset:2912
	ds_read_b128 v[20:23], v250 offset:6656
	;; [unrolled: 1-line block ×7, first 2 shown]
.LBB0_29:
	s_or_b32 exec_lo, exec_lo, s1
	v_lshrrev_b16 v56, 1, v76
	v_mov_b32_e32 v57, 6
	s_mov_b32 s8, 0x37e14327
	s_mov_b32 s16, 0xe976ee23
	;; [unrolled: 1-line block ×3, first 2 shown]
	v_and_b32_e32 v56, 0x7f, v56
	s_mov_b32 s17, 0x3fe11646
	s_mov_b32 s6, 0x429ad128
	;; [unrolled: 1-line block ×4, first 2 shown]
	v_mul_lo_u16 v56, 0xd3, v56
	s_mov_b32 s5, 0x3fac98ee
	s_mov_b32 s14, 0xaaaaaaaa
	;; [unrolled: 1-line block ×4, first 2 shown]
	v_lshrrev_b16 v78, 13, v56
	s_mov_b32 s18, 0x5476071b
	s_mov_b32 s23, 0xbfd5d0dc
	s_mov_b32 s19, 0x3fe77f67
	s_mov_b32 s21, 0xbfe77f67
	v_mul_lo_u16 v56, 0x4e, v78
	s_mov_b32 s25, 0x3fd5d0dc
	s_mov_b32 s20, s18
	;; [unrolled: 1-line block ×4, first 2 shown]
	v_sub_nc_u16 v100, v76, v56
	s_mov_b32 s27, 0xbfdc38aa
	v_mul_u32_u24_sdwa v56, v100, v57 dst_sel:DWORD dst_unused:UNUSED_PAD src0_sel:BYTE_0 src1_sel:DWORD
	v_lshlrev_b32_e32 v84, 4, v56
	s_clause 0x5
	global_load_dwordx4 v[56:59], v84, s[12:13] offset:1040
	global_load_dwordx4 v[60:63], v84, s[12:13] offset:1056
	;; [unrolled: 1-line block ×6, first 2 shown]
	s_waitcnt vmcnt(0) lgkmcnt(0)
	s_barrier
	buffer_gl0_inv
	v_mul_f64 v[88:89], v[50:51], v[58:59]
	v_mul_f64 v[58:59], v[48:49], v[58:59]
	;; [unrolled: 1-line block ×12, first 2 shown]
	v_fma_f64 v[48:49], v[48:49], v[56:57], v[88:89]
	v_fma_f64 v[50:51], v[50:51], v[56:57], -v[58:59]
	v_fma_f64 v[44:45], v[44:45], v[60:61], v[90:91]
	v_fma_f64 v[46:47], v[46:47], v[60:61], -v[62:63]
	;; [unrolled: 2-line block ×6, first 2 shown]
	v_add_f64 v[56:57], v[48:49], v[52:53]
	v_add_f64 v[58:59], v[50:51], v[54:55]
	;; [unrolled: 1-line block ×4, first 2 shown]
	v_add_f64 v[40:41], v[44:45], -v[40:41]
	v_add_f64 v[42:43], v[46:47], -v[42:43]
	v_add_f64 v[44:45], v[36:37], v[32:33]
	v_add_f64 v[46:47], v[38:39], v[34:35]
	v_add_f64 v[32:33], v[32:33], -v[36:37]
	v_add_f64 v[34:35], v[34:35], -v[38:39]
	;; [unrolled: 1-line block ×4, first 2 shown]
	v_add_f64 v[48:49], v[60:61], v[56:57]
	v_add_f64 v[50:51], v[62:63], v[58:59]
	v_add_f64 v[52:53], v[56:57], -v[44:45]
	v_add_f64 v[54:55], v[58:59], -v[46:47]
	;; [unrolled: 1-line block ×6, first 2 shown]
	v_add_f64 v[40:41], v[32:33], v[40:41]
	v_add_f64 v[42:43], v[34:35], v[42:43]
	v_add_f64 v[32:33], v[36:37], -v[32:33]
	v_add_f64 v[34:35], v[38:39], -v[34:35]
	;; [unrolled: 1-line block ×4, first 2 shown]
	v_add_f64 v[48:49], v[44:45], v[48:49]
	v_add_f64 v[50:51], v[46:47], v[50:51]
	v_add_f64 v[44:45], v[44:45], -v[60:61]
	v_add_f64 v[46:47], v[46:47], -v[62:63]
	v_mul_f64 v[52:53], v[52:53], s[8:9]
	v_mul_f64 v[54:55], v[54:55], s[8:9]
	;; [unrolled: 1-line block ×6, first 2 shown]
	v_add_f64 v[36:37], v[40:41], v[36:37]
	v_add_f64 v[38:39], v[42:43], v[38:39]
	;; [unrolled: 1-line block ×4, first 2 shown]
	v_mul_f64 v[60:61], v[44:45], s[4:5]
	v_mul_f64 v[62:63], v[46:47], s[4:5]
	v_fma_f64 v[40:41], v[44:45], s[4:5], v[52:53]
	v_fma_f64 v[42:43], v[46:47], s[4:5], v[54:55]
	v_fma_f64 v[44:45], v[32:33], s[22:23], v[64:65]
	v_fma_f64 v[46:47], v[34:35], s[22:23], v[66:67]
	v_fma_f64 v[64:65], v[68:69], s[6:7], -v[64:65]
	v_fma_f64 v[66:67], v[70:71], s[6:7], -v[66:67]
	;; [unrolled: 1-line block ×6, first 2 shown]
	v_fma_f64 v[48:49], v[48:49], s[14:15], v[28:29]
	v_fma_f64 v[50:51], v[50:51], s[14:15], v[30:31]
	v_fma_f64 v[56:57], v[56:57], s[18:19], -v[60:61]
	v_fma_f64 v[58:59], v[58:59], s[18:19], -v[62:63]
	v_fma_f64 v[60:61], v[36:37], s[26:27], v[44:45]
	v_fma_f64 v[62:63], v[38:39], s[26:27], v[46:47]
	;; [unrolled: 1-line block ×6, first 2 shown]
	v_add_f64 v[68:69], v[40:41], v[48:49]
	v_add_f64 v[70:71], v[42:43], v[50:51]
	;; [unrolled: 1-line block ×6, first 2 shown]
	v_mov_b32_e32 v56, 0x2220
	v_mov_b32_e32 v57, 4
	v_mul_u32_u24_sdwa v56, v78, v56 dst_sel:DWORD dst_unused:UNUSED_PAD src0_sel:WORD_0 src1_sel:DWORD
	v_lshlrev_b32_sdwa v57, v57, v100 dst_sel:DWORD dst_unused:UNUSED_PAD src0_sel:DWORD src1_sel:BYTE_0
	v_add3_u32 v56, 0, v56, v57
	v_add_f64 v[32:33], v[62:63], v[68:69]
	v_add_f64 v[34:35], v[70:71], -v[60:61]
	v_add_f64 v[36:37], v[66:67], v[52:53]
	v_add_f64 v[38:39], v[54:55], -v[64:65]
	v_add_f64 v[40:41], v[48:49], -v[44:45]
	v_add_f64 v[42:43], v[46:47], v[50:51]
	v_add_f64 v[44:45], v[44:45], v[48:49]
	v_add_f64 v[46:47], v[50:51], -v[46:47]
	v_add_f64 v[48:49], v[52:53], -v[66:67]
	v_add_f64 v[50:51], v[64:65], v[54:55]
	v_add_f64 v[52:53], v[68:69], -v[62:63]
	v_add_f64 v[54:55], v[60:61], v[70:71]
	ds_write_b128 v56, v[28:31]
	ds_write_b128 v56, v[32:35] offset:1248
	ds_write_b128 v56, v[36:39] offset:2496
	;; [unrolled: 1-line block ×6, first 2 shown]
	s_and_saveexec_b32 s1, s0
	s_cbranch_execz .LBB0_31
; %bb.30:
	v_lshrrev_b16 v28, 1, v77
	v_mov_b32_e32 v29, 0x6907
	v_mul_u32_u24_sdwa v28, v28, v29 dst_sel:DWORD dst_unused:UNUSED_PAD src0_sel:WORD_0 src1_sel:DWORD
	v_lshrrev_b32_e32 v28, 20, v28
	v_mul_lo_u16 v28, 0x4e, v28
	v_sub_nc_u16 v28, v77, v28
	v_and_b32_e32 v64, 0xffff, v28
	v_mul_u32_u24_e32 v28, 6, v64
	v_lshlrev_b32_e32 v48, 4, v28
	s_clause 0x5
	global_load_dwordx4 v[28:31], v48, s[12:13] offset:1056
	global_load_dwordx4 v[32:35], v48, s[12:13] offset:1104
	;; [unrolled: 1-line block ×6, first 2 shown]
	s_waitcnt vmcnt(5)
	v_mul_f64 v[52:53], v[12:13], v[30:31]
	s_waitcnt vmcnt(4)
	v_mul_f64 v[54:55], v[0:1], v[34:35]
	;; [unrolled: 2-line block ×4, first 2 shown]
	v_mul_f64 v[30:31], v[14:15], v[30:31]
	v_mul_f64 v[34:35], v[2:3], v[34:35]
	;; [unrolled: 1-line block ×4, first 2 shown]
	s_waitcnt vmcnt(1)
	v_mul_f64 v[60:61], v[6:7], v[46:47]
	s_waitcnt vmcnt(0)
	v_mul_f64 v[62:63], v[10:11], v[50:51]
	v_mul_f64 v[50:51], v[8:9], v[50:51]
	;; [unrolled: 1-line block ×3, first 2 shown]
	v_fma_f64 v[14:15], v[14:15], v[28:29], -v[52:53]
	v_fma_f64 v[2:3], v[2:3], v[32:33], -v[54:55]
	;; [unrolled: 1-line block ×4, first 2 shown]
	v_fma_f64 v[12:13], v[12:13], v[28:29], v[30:31]
	v_fma_f64 v[0:1], v[0:1], v[32:33], v[34:35]
	;; [unrolled: 1-line block ×6, first 2 shown]
	v_fma_f64 v[10:11], v[10:11], v[48:49], -v[50:51]
	v_fma_f64 v[6:7], v[6:7], v[44:45], -v[46:47]
	v_add_f64 v[28:29], v[14:15], v[2:3]
	v_add_f64 v[2:3], v[14:15], -v[2:3]
	v_add_f64 v[30:31], v[22:23], v[26:27]
	v_add_f64 v[32:33], v[12:13], v[0:1]
	v_add_f64 v[0:1], v[12:13], -v[0:1]
	v_add_f64 v[34:35], v[20:21], v[24:25]
	v_add_f64 v[36:37], v[4:5], -v[8:9]
	v_add_f64 v[4:5], v[8:9], v[4:5]
	v_add_f64 v[12:13], v[10:11], v[6:7]
	v_add_f64 v[8:9], v[20:21], -v[24:25]
	v_add_f64 v[6:7], v[6:7], -v[10:11]
	v_add_f64 v[10:11], v[22:23], -v[26:27]
	v_add_f64 v[20:21], v[28:29], v[30:31]
	v_add_f64 v[14:15], v[32:33], v[34:35]
	v_add_f64 v[22:23], v[36:37], -v[0:1]
	v_add_f64 v[26:27], v[34:35], -v[4:5]
	;; [unrolled: 1-line block ×6, first 2 shown]
	v_add_f64 v[44:45], v[36:37], v[0:1]
	v_add_f64 v[36:37], v[8:9], -v[36:37]
	v_add_f64 v[46:47], v[6:7], v[2:3]
	v_add_f64 v[6:7], v[10:11], -v[6:7]
	;; [unrolled: 2-line block ×4, first 2 shown]
	v_mul_f64 v[22:23], v[22:23], s[16:17]
	v_mul_f64 v[26:27], v[26:27], s[8:9]
	;; [unrolled: 1-line block ×4, first 2 shown]
	v_add_f64 v[8:9], v[44:45], v[8:9]
	v_add_f64 v[10:11], v[46:47], v[10:11]
	;; [unrolled: 1-line block ×3, first 2 shown]
	v_add_f64 v[18:19], v[28:29], -v[30:31]
	v_mul_f64 v[28:29], v[12:13], s[4:5]
	v_mul_f64 v[30:31], v[40:41], s[16:17]
	v_add_f64 v[0:1], v[16:17], v[14:15]
	v_mul_f64 v[40:41], v[42:43], s[6:7]
	v_add_f64 v[16:17], v[32:33], -v[34:35]
	v_mul_f64 v[32:33], v[4:5], s[4:5]
	v_fma_f64 v[34:35], v[36:37], s[22:23], v[22:23]
	v_fma_f64 v[12:13], v[12:13], s[4:5], v[24:25]
	;; [unrolled: 1-line block ×3, first 2 shown]
	v_fma_f64 v[36:37], v[36:37], s[24:25], -v[48:49]
	v_fma_f64 v[22:23], v[38:39], s[6:7], -v[22:23]
	v_fma_f64 v[20:21], v[20:21], s[14:15], v[2:3]
	v_fma_f64 v[24:25], v[18:19], s[20:21], -v[24:25]
	v_fma_f64 v[18:19], v[18:19], s[18:19], -v[28:29]
	v_fma_f64 v[28:29], v[6:7], s[22:23], v[30:31]
	v_fma_f64 v[14:15], v[14:15], s[14:15], v[0:1]
	v_fma_f64 v[6:7], v[6:7], s[24:25], -v[40:41]
	v_fma_f64 v[26:27], v[16:17], s[20:21], -v[26:27]
	;; [unrolled: 1-line block ×4, first 2 shown]
	v_fma_f64 v[32:33], v[8:9], s[26:27], v[34:35]
	v_fma_f64 v[34:35], v[8:9], s[26:27], v[36:37]
	;; [unrolled: 1-line block ×3, first 2 shown]
	v_add_f64 v[12:13], v[12:13], v[20:21]
	v_add_f64 v[22:23], v[24:25], v[20:21]
	;; [unrolled: 1-line block ×3, first 2 shown]
	v_fma_f64 v[28:29], v[10:11], s[26:27], v[28:29]
	v_add_f64 v[4:5], v[4:5], v[14:15]
	v_fma_f64 v[36:37], v[10:11], s[26:27], v[6:7]
	v_add_f64 v[38:39], v[26:27], v[14:15]
	;; [unrolled: 2-line block ×3, first 2 shown]
	v_add_f64 v[26:27], v[12:13], -v[32:33]
	v_add_f64 v[10:11], v[34:35], v[22:23]
	v_add_f64 v[22:23], v[22:23], -v[34:35]
	v_add_f64 v[14:15], v[18:19], -v[8:9]
	v_add_f64 v[24:25], v[28:29], v[4:5]
	v_add_f64 v[18:19], v[8:9], v[18:19]
	;; [unrolled: 1-line block ×4, first 2 shown]
	v_add_f64 v[16:17], v[40:41], -v[30:31]
	v_add_f64 v[12:13], v[30:31], v[40:41]
	v_add_f64 v[8:9], v[38:39], -v[36:37]
	v_add_f64 v[4:5], v[4:5], -v[28:29]
	v_lshl_add_u32 v28, v64, 4, 0
	ds_write_b128 v28, v[0:3] offset:17472
	ds_write_b128 v28, v[24:27] offset:18720
	;; [unrolled: 1-line block ×7, first 2 shown]
.LBB0_31:
	s_or_b32 exec_lo, exec_lo, s1
	v_lshlrev_b32_e32 v0, 1, v76
	v_mov_b32_e32 v1, 0
	s_waitcnt lgkmcnt(0)
	s_barrier
	buffer_gl0_inv
	s_mov_b32 s5, 0x3febb67a
	v_lshlrev_b64 v[2:3], 4, v[0:1]
	v_lshlrev_b32_e32 v0, 1, v77
	v_lshlrev_b64 v[10:11], 4, v[0:1]
	v_add_co_u32 v4, s0, s12, v2
	v_add_co_ci_u32_e64 v5, s0, s13, v3, s0
	v_lshlrev_b32_e32 v0, 1, v79
	v_add_co_u32 v2, s0, 0x2000, v4
	v_add_co_ci_u32_e64 v3, s0, 0, v5, s0
	v_add_co_u32 v6, s0, 0x2150, v4
	v_add_co_ci_u32_e64 v7, s0, 0, v5, s0
	;; [unrolled: 2-line block ×3, first 2 shown]
	v_lshlrev_b64 v[10:11], 4, v[0:1]
	v_add_co_u32 v14, s0, 0x2150, v12
	v_add_co_ci_u32_e64 v15, s0, 0, v13, s0
	s_clause 0x1
	global_load_dwordx4 v[2:5], v[2:3], off offset:336
	global_load_dwordx4 v[6:9], v[6:7], off offset:16
	v_add_co_u32 v0, s0, s12, v10
	v_add_co_ci_u32_e64 v16, s0, s13, v11, s0
	v_add_co_u32 v10, s0, 0x2000, v12
	v_add_co_ci_u32_e64 v11, s0, 0, v13, s0
	;; [unrolled: 2-line block ×4, first 2 shown]
	s_clause 0x3
	global_load_dwordx4 v[10:13], v[10:11], off offset:336
	global_load_dwordx4 v[14:17], v[14:15], off offset:16
	;; [unrolled: 1-line block ×4, first 2 shown]
	ds_read_b128 v[26:29], v250 offset:8736
	ds_read_b128 v[30:33], v250 offset:17472
	ds_read_b128 v[34:37], v250 offset:11648
	ds_read_b128 v[38:41], v250 offset:20384
	ds_read_b128 v[42:45], v250 offset:14560
	ds_read_b128 v[46:49], v250 offset:23296
	ds_read_b128 v[50:53], v250 offset:5824
	s_mov_b32 s0, 0xe8584caa
	s_mov_b32 s1, 0xbfebb67a
	;; [unrolled: 1-line block ×3, first 2 shown]
	s_waitcnt vmcnt(5) lgkmcnt(6)
	v_mul_f64 v[54:55], v[28:29], v[4:5]
	s_waitcnt vmcnt(4) lgkmcnt(5)
	v_mul_f64 v[56:57], v[32:33], v[8:9]
	v_mul_f64 v[4:5], v[26:27], v[4:5]
	v_mul_f64 v[8:9], v[30:31], v[8:9]
	s_waitcnt vmcnt(3) lgkmcnt(4)
	v_mul_f64 v[58:59], v[36:37], v[12:13]
	s_waitcnt vmcnt(2) lgkmcnt(3)
	v_mul_f64 v[60:61], v[40:41], v[16:17]
	v_mul_f64 v[12:13], v[34:35], v[12:13]
	v_mul_f64 v[16:17], v[38:39], v[16:17]
	;; [unrolled: 6-line block ×3, first 2 shown]
	v_fma_f64 v[26:27], v[26:27], v[2:3], v[54:55]
	v_fma_f64 v[30:31], v[30:31], v[6:7], v[56:57]
	v_fma_f64 v[28:29], v[28:29], v[2:3], -v[4:5]
	v_fma_f64 v[32:33], v[32:33], v[6:7], -v[8:9]
	ds_read_b128 v[2:5], v250
	ds_read_b128 v[6:9], v250 offset:2912
	s_waitcnt lgkmcnt(0)
	s_barrier
	buffer_gl0_inv
	v_fma_f64 v[34:35], v[34:35], v[10:11], v[58:59]
	v_fma_f64 v[38:39], v[38:39], v[14:15], v[60:61]
	v_fma_f64 v[10:11], v[36:37], v[10:11], -v[12:13]
	v_fma_f64 v[12:13], v[40:41], v[14:15], -v[16:17]
	v_fma_f64 v[14:15], v[42:43], v[18:19], v[62:63]
	v_fma_f64 v[16:17], v[46:47], v[22:23], v[64:65]
	v_fma_f64 v[18:19], v[44:45], v[18:19], -v[20:21]
	v_fma_f64 v[20:21], v[48:49], v[22:23], -v[24:25]
	v_add_f64 v[22:23], v[26:27], v[30:31]
	v_add_f64 v[46:47], v[2:3], v[26:27]
	v_add_f64 v[24:25], v[28:29], v[32:33]
	v_add_f64 v[48:49], v[28:29], -v[32:33]
	v_add_f64 v[28:29], v[4:5], v[28:29]
	v_add_f64 v[26:27], v[26:27], -v[30:31]
	v_add_f64 v[54:55], v[6:7], v[34:35]
	v_add_f64 v[36:37], v[34:35], v[38:39]
	;; [unrolled: 1-line block ×8, first 2 shown]
	v_add_f64 v[62:63], v[10:11], -v[12:13]
	v_fma_f64 v[22:23], v[22:23], -0.5, v[2:3]
	v_add_f64 v[34:35], v[34:35], -v[38:39]
	v_fma_f64 v[24:25], v[24:25], -0.5, v[4:5]
	v_add_f64 v[64:65], v[18:19], -v[20:21]
	v_add_f64 v[2:3], v[46:47], v[30:31]
	v_add_f64 v[4:5], v[28:29], v[32:33]
	v_fma_f64 v[36:37], v[36:37], -0.5, v[6:7]
	v_add_f64 v[6:7], v[54:55], v[38:39]
	v_fma_f64 v[40:41], v[40:41], -0.5, v[8:9]
	;; [unrolled: 2-line block ×3, first 2 shown]
	v_add_f64 v[50:51], v[14:15], -v[16:17]
	v_fma_f64 v[44:45], v[44:45], -0.5, v[52:53]
	v_add_f64 v[10:11], v[58:59], v[16:17]
	v_add_f64 v[12:13], v[60:61], v[20:21]
	v_fma_f64 v[14:15], v[48:49], s[0:1], v[22:23]
	v_fma_f64 v[16:17], v[26:27], s[4:5], v[24:25]
	;; [unrolled: 1-line block ×12, first 2 shown]
	ds_write_b128 v250, v[2:5]
	ds_write_b128 v250, v[6:9] offset:2912
	ds_write_b128 v250, v[10:13] offset:5824
	;; [unrolled: 1-line block ×8, first 2 shown]
	s_waitcnt lgkmcnt(0)
	s_barrier
	buffer_gl0_inv
	s_and_saveexec_b32 s0, vcc_lo
	s_cbranch_execz .LBB0_33
; %bb.32:
	v_mul_lo_u32 v0, s3, v74
	v_mul_lo_u32 v4, s2, v75
	v_mad_u64_u32 v[2:3], null, s2, v74, 0
	v_mov_b32_e32 v77, v1
	v_lshlrev_b64 v[10:11], 4, v[72:73]
	v_lshl_add_u32 v28, v76, 4, 0
	v_lshlrev_b64 v[12:13], 4, v[76:77]
	v_add3_u32 v3, v3, v4, v0
	v_add_nc_u32_e32 v0, 0xb6, v76
	v_lshlrev_b64 v[14:15], 4, v[2:3]
	ds_read_b128 v[2:5], v28
	ds_read_b128 v[6:9], v28 offset:2912
	v_lshlrev_b64 v[18:19], 4, v[0:1]
	v_add_nc_u32_e32 v0, 0x16c, v76
	v_add_co_u32 v14, vcc_lo, s10, v14
	v_add_co_ci_u32_e32 v15, vcc_lo, s11, v15, vcc_lo
	v_lshlrev_b64 v[20:21], 4, v[0:1]
	v_add_co_u32 v30, vcc_lo, v14, v10
	v_add_co_ci_u32_e32 v31, vcc_lo, v15, v11, vcc_lo
	v_add_nc_u32_e32 v0, 0x222, v76
	v_add_co_u32 v22, vcc_lo, v30, v12
	v_add_co_ci_u32_e32 v23, vcc_lo, v31, v13, vcc_lo
	ds_read_b128 v[10:13], v28 offset:5824
	ds_read_b128 v[14:17], v28 offset:8736
	v_add_co_u32 v18, vcc_lo, v30, v18
	v_lshlrev_b64 v[24:25], 4, v[0:1]
	v_add_nc_u32_e32 v0, 0x2d8, v76
	v_add_co_ci_u32_e32 v19, vcc_lo, v31, v19, vcc_lo
	v_add_co_u32 v20, vcc_lo, v30, v20
	v_add_co_ci_u32_e32 v21, vcc_lo, v31, v21, vcc_lo
	v_lshlrev_b64 v[26:27], 4, v[0:1]
	v_add_nc_u32_e32 v0, 0x38e, v76
	v_add_co_u32 v24, vcc_lo, v30, v24
	v_add_co_ci_u32_e32 v25, vcc_lo, v31, v25, vcc_lo
	s_waitcnt lgkmcnt(3)
	global_store_dwordx4 v[22:23], v[2:5], off
	s_waitcnt lgkmcnt(2)
	global_store_dwordx4 v[18:19], v[6:9], off
	s_waitcnt lgkmcnt(1)
	global_store_dwordx4 v[20:21], v[10:13], off
	s_waitcnt lgkmcnt(0)
	global_store_dwordx4 v[24:25], v[14:17], off
	v_lshlrev_b64 v[10:11], 4, v[0:1]
	v_add_co_u32 v22, vcc_lo, v30, v26
	v_add_nc_u32_e32 v0, 0x444, v76
	v_add_co_ci_u32_e32 v23, vcc_lo, v31, v27, vcc_lo
	v_add_co_u32 v26, vcc_lo, v30, v10
	ds_read_b128 v[2:5], v28 offset:11648
	ds_read_b128 v[6:9], v28 offset:14560
	v_add_co_ci_u32_e32 v27, vcc_lo, v31, v11, vcc_lo
	ds_read_b128 v[10:13], v28 offset:17472
	ds_read_b128 v[14:17], v28 offset:20384
	;; [unrolled: 1-line block ×3, first 2 shown]
	v_lshlrev_b64 v[24:25], 4, v[0:1]
	v_add_nc_u32_e32 v0, 0x4fa, v76
	v_lshlrev_b64 v[28:29], 4, v[0:1]
	v_add_nc_u32_e32 v0, 0x5b0, v76
	v_add_co_u32 v24, vcc_lo, v30, v24
	v_add_co_ci_u32_e32 v25, vcc_lo, v31, v25, vcc_lo
	v_lshlrev_b64 v[0:1], 4, v[0:1]
	v_add_co_u32 v28, vcc_lo, v30, v28
	v_add_co_ci_u32_e32 v29, vcc_lo, v31, v29, vcc_lo
	v_add_co_u32 v0, vcc_lo, v30, v0
	v_add_co_ci_u32_e32 v1, vcc_lo, v31, v1, vcc_lo
	s_waitcnt lgkmcnt(4)
	global_store_dwordx4 v[22:23], v[2:5], off
	s_waitcnt lgkmcnt(3)
	global_store_dwordx4 v[26:27], v[6:9], off
	;; [unrolled: 2-line block ×5, first 2 shown]
.LBB0_33:
	s_endpgm
	.section	.rodata,"a",@progbits
	.p2align	6, 0x0
	.amdhsa_kernel fft_rtc_back_len1638_factors_13_2_3_7_3_wgs_182_tpt_182_halfLds_dp_op_CI_CI_unitstride_sbrr_C2R_dirReg
		.amdhsa_group_segment_fixed_size 0
		.amdhsa_private_segment_fixed_size 0
		.amdhsa_kernarg_size 104
		.amdhsa_user_sgpr_count 6
		.amdhsa_user_sgpr_private_segment_buffer 1
		.amdhsa_user_sgpr_dispatch_ptr 0
		.amdhsa_user_sgpr_queue_ptr 0
		.amdhsa_user_sgpr_kernarg_segment_ptr 1
		.amdhsa_user_sgpr_dispatch_id 0
		.amdhsa_user_sgpr_flat_scratch_init 0
		.amdhsa_user_sgpr_private_segment_size 0
		.amdhsa_wavefront_size32 1
		.amdhsa_uses_dynamic_stack 0
		.amdhsa_system_sgpr_private_segment_wavefront_offset 0
		.amdhsa_system_sgpr_workgroup_id_x 1
		.amdhsa_system_sgpr_workgroup_id_y 0
		.amdhsa_system_sgpr_workgroup_id_z 0
		.amdhsa_system_sgpr_workgroup_info 0
		.amdhsa_system_vgpr_workitem_id 0
		.amdhsa_next_free_vgpr 253
		.amdhsa_next_free_sgpr 46
		.amdhsa_reserve_vcc 1
		.amdhsa_reserve_flat_scratch 0
		.amdhsa_float_round_mode_32 0
		.amdhsa_float_round_mode_16_64 0
		.amdhsa_float_denorm_mode_32 3
		.amdhsa_float_denorm_mode_16_64 3
		.amdhsa_dx10_clamp 1
		.amdhsa_ieee_mode 1
		.amdhsa_fp16_overflow 0
		.amdhsa_workgroup_processor_mode 1
		.amdhsa_memory_ordered 1
		.amdhsa_forward_progress 0
		.amdhsa_shared_vgpr_count 0
		.amdhsa_exception_fp_ieee_invalid_op 0
		.amdhsa_exception_fp_denorm_src 0
		.amdhsa_exception_fp_ieee_div_zero 0
		.amdhsa_exception_fp_ieee_overflow 0
		.amdhsa_exception_fp_ieee_underflow 0
		.amdhsa_exception_fp_ieee_inexact 0
		.amdhsa_exception_int_div_zero 0
	.end_amdhsa_kernel
	.text
.Lfunc_end0:
	.size	fft_rtc_back_len1638_factors_13_2_3_7_3_wgs_182_tpt_182_halfLds_dp_op_CI_CI_unitstride_sbrr_C2R_dirReg, .Lfunc_end0-fft_rtc_back_len1638_factors_13_2_3_7_3_wgs_182_tpt_182_halfLds_dp_op_CI_CI_unitstride_sbrr_C2R_dirReg
                                        ; -- End function
	.section	.AMDGPU.csdata,"",@progbits
; Kernel info:
; codeLenInByte = 12964
; NumSgprs: 48
; NumVgprs: 253
; ScratchSize: 0
; MemoryBound: 0
; FloatMode: 240
; IeeeMode: 1
; LDSByteSize: 0 bytes/workgroup (compile time only)
; SGPRBlocks: 5
; VGPRBlocks: 31
; NumSGPRsForWavesPerEU: 48
; NumVGPRsForWavesPerEU: 253
; Occupancy: 4
; WaveLimiterHint : 1
; COMPUTE_PGM_RSRC2:SCRATCH_EN: 0
; COMPUTE_PGM_RSRC2:USER_SGPR: 6
; COMPUTE_PGM_RSRC2:TRAP_HANDLER: 0
; COMPUTE_PGM_RSRC2:TGID_X_EN: 1
; COMPUTE_PGM_RSRC2:TGID_Y_EN: 0
; COMPUTE_PGM_RSRC2:TGID_Z_EN: 0
; COMPUTE_PGM_RSRC2:TIDIG_COMP_CNT: 0
	.text
	.p2alignl 6, 3214868480
	.fill 48, 4, 3214868480
	.type	__hip_cuid_fef8d703b68a46a3,@object ; @__hip_cuid_fef8d703b68a46a3
	.section	.bss,"aw",@nobits
	.globl	__hip_cuid_fef8d703b68a46a3
__hip_cuid_fef8d703b68a46a3:
	.byte	0                               ; 0x0
	.size	__hip_cuid_fef8d703b68a46a3, 1

	.ident	"AMD clang version 19.0.0git (https://github.com/RadeonOpenCompute/llvm-project roc-6.4.0 25133 c7fe45cf4b819c5991fe208aaa96edf142730f1d)"
	.section	".note.GNU-stack","",@progbits
	.addrsig
	.addrsig_sym __hip_cuid_fef8d703b68a46a3
	.amdgpu_metadata
---
amdhsa.kernels:
  - .args:
      - .actual_access:  read_only
        .address_space:  global
        .offset:         0
        .size:           8
        .value_kind:     global_buffer
      - .offset:         8
        .size:           8
        .value_kind:     by_value
      - .actual_access:  read_only
        .address_space:  global
        .offset:         16
        .size:           8
        .value_kind:     global_buffer
      - .actual_access:  read_only
        .address_space:  global
        .offset:         24
        .size:           8
        .value_kind:     global_buffer
      - .actual_access:  read_only
        .address_space:  global
        .offset:         32
        .size:           8
        .value_kind:     global_buffer
      - .offset:         40
        .size:           8
        .value_kind:     by_value
      - .actual_access:  read_only
        .address_space:  global
        .offset:         48
        .size:           8
        .value_kind:     global_buffer
      - .actual_access:  read_only
        .address_space:  global
        .offset:         56
        .size:           8
        .value_kind:     global_buffer
      - .offset:         64
        .size:           4
        .value_kind:     by_value
      - .actual_access:  read_only
        .address_space:  global
        .offset:         72
        .size:           8
        .value_kind:     global_buffer
      - .actual_access:  read_only
        .address_space:  global
        .offset:         80
        .size:           8
        .value_kind:     global_buffer
      - .actual_access:  read_only
        .address_space:  global
        .offset:         88
        .size:           8
        .value_kind:     global_buffer
      - .actual_access:  write_only
        .address_space:  global
        .offset:         96
        .size:           8
        .value_kind:     global_buffer
    .group_segment_fixed_size: 0
    .kernarg_segment_align: 8
    .kernarg_segment_size: 104
    .language:       OpenCL C
    .language_version:
      - 2
      - 0
    .max_flat_workgroup_size: 182
    .name:           fft_rtc_back_len1638_factors_13_2_3_7_3_wgs_182_tpt_182_halfLds_dp_op_CI_CI_unitstride_sbrr_C2R_dirReg
    .private_segment_fixed_size: 0
    .sgpr_count:     48
    .sgpr_spill_count: 0
    .symbol:         fft_rtc_back_len1638_factors_13_2_3_7_3_wgs_182_tpt_182_halfLds_dp_op_CI_CI_unitstride_sbrr_C2R_dirReg.kd
    .uniform_work_group_size: 1
    .uses_dynamic_stack: false
    .vgpr_count:     253
    .vgpr_spill_count: 0
    .wavefront_size: 32
    .workgroup_processor_mode: 1
amdhsa.target:   amdgcn-amd-amdhsa--gfx1030
amdhsa.version:
  - 1
  - 2
...

	.end_amdgpu_metadata
